;; amdgpu-corpus repo=ROCm/rocFFT kind=compiled arch=gfx1201 opt=O3
	.text
	.amdgcn_target "amdgcn-amd-amdhsa--gfx1201"
	.amdhsa_code_object_version 6
	.protected	bluestein_single_fwd_len880_dim1_dp_op_CI_CI ; -- Begin function bluestein_single_fwd_len880_dim1_dp_op_CI_CI
	.globl	bluestein_single_fwd_len880_dim1_dp_op_CI_CI
	.p2align	8
	.type	bluestein_single_fwd_len880_dim1_dp_op_CI_CI,@function
bluestein_single_fwd_len880_dim1_dp_op_CI_CI: ; @bluestein_single_fwd_len880_dim1_dp_op_CI_CI
; %bb.0:
	s_load_b128 s[16:19], s[0:1], 0x28
	v_mul_u32_u24_e32 v1, 0x2e9, v0
	v_mov_b32_e32 v7, 0
	s_mov_b32 s2, exec_lo
	s_delay_alu instid0(VALU_DEP_2) | instskip(NEXT) | instid1(VALU_DEP_1)
	v_lshrrev_b32_e32 v40, 16, v1
	v_lshl_add_u32 v6, ttmp9, 1, v40
	s_wait_kmcnt 0x0
	s_delay_alu instid0(VALU_DEP_1)
	v_cmpx_gt_u64_e64 s[16:17], v[6:7]
	s_cbranch_execz .LBB0_10
; %bb.1:
	s_clause 0x1
	s_load_b128 s[4:7], s[0:1], 0x18
	s_load_b128 s[8:11], s[0:1], 0x0
	v_mul_lo_u16 v1, 0x58, v40
	s_load_b64 s[0:1], s[0:1], 0x38
	v_and_b32_e32 v40, 1, v40
	s_delay_alu instid0(VALU_DEP_2) | instskip(NEXT) | instid1(VALU_DEP_1)
	v_sub_nc_u16 v44, v0, v1
	v_and_b32_e32 v16, 0xffff, v44
	s_wait_kmcnt 0x0
	s_load_b128 s[12:15], s[4:5], 0x0
	s_movk_i32 s4, 0xea00
	s_mov_b32 s5, -1
	s_wait_kmcnt 0x0
	v_mad_co_u64_u32 v[12:13], null, s12, v16, 0
	v_mad_co_u64_u32 v[0:1], null, s14, v6, 0
	s_mul_u64 s[2:3], s[12:13], 0x1b80
	s_mul_u64 s[4:5], s[12:13], s[4:5]
	s_delay_alu instid0(VALU_DEP_2) | instskip(NEXT) | instid1(VALU_DEP_1)
	v_mov_b32_e32 v2, v13
	v_mad_co_u64_u32 v[3:4], null, s15, v6, v[1:2]
	s_delay_alu instid0(VALU_DEP_1)
	v_mov_b32_e32 v1, v3
	v_lshlrev_b32_e32 v45, 4, v16
	v_mad_co_u64_u32 v[4:5], null, s13, v16, v[2:3]
	s_clause 0x2
	global_load_b128 v[218:221], v45, s[8:9] offset:7040
	global_load_b128 v[222:225], v45, s[8:9]
	global_load_b128 v[237:240], v45, s[8:9] offset:1408
	v_lshlrev_b64_e32 v[14:15], 4, v[0:1]
	s_clause 0x3
	global_load_b128 v[241:244], v45, s[8:9] offset:8448
	global_load_b128 v[245:248], v45, s[8:9] offset:9856
	;; [unrolled: 1-line block ×4, first 2 shown]
	v_mov_b32_e32 v13, v4
	global_load_b128 v[7:10], v45, s[8:9] offset:11264
	v_add_co_u32 v228, null, 0x58, v16
	v_add_co_u32 v22, vcc_lo, s18, v14
	v_lshlrev_b64_e32 v[20:21], 4, v[12:13]
	v_add_co_ci_u32_e32 v23, vcc_lo, s19, v15, vcc_lo
	v_and_b32_e32 v132, 7, v16
	s_delay_alu instid0(VALU_DEP_3) | instskip(SKIP_1) | instid1(VALU_DEP_3)
	v_add_co_u32 v32, vcc_lo, v22, v20
	s_wait_alu 0xfffd
	v_add_co_ci_u32_e32 v33, vcc_lo, v23, v21, vcc_lo
	s_delay_alu instid0(VALU_DEP_2) | instskip(SKIP_1) | instid1(VALU_DEP_2)
	v_add_co_u32 v34, vcc_lo, v32, s2
	s_wait_alu 0xfffd
	v_add_co_ci_u32_e32 v35, vcc_lo, s3, v33, vcc_lo
	s_clause 0x1
	global_load_b128 v[46:49], v[32:33], off
	global_load_b128 v[50:53], v[34:35], off
	v_add_co_u32 v36, vcc_lo, v34, s4
	s_wait_alu 0xfffd
	v_add_co_ci_u32_e32 v37, vcc_lo, s5, v35, vcc_lo
	s_delay_alu instid0(VALU_DEP_2) | instskip(SKIP_1) | instid1(VALU_DEP_2)
	v_add_co_u32 v38, vcc_lo, v36, s2
	s_wait_alu 0xfffd
	v_add_co_ci_u32_e32 v39, vcc_lo, s3, v37, vcc_lo
	s_clause 0x1
	global_load_b128 v[54:57], v[36:37], off
	global_load_b128 v[58:61], v[38:39], off
	v_add_co_u32 v41, vcc_lo, v38, s4
	s_wait_alu 0xfffd
	v_add_co_ci_u32_e32 v42, vcc_lo, s5, v39, vcc_lo
	s_delay_alu instid0(VALU_DEP_2) | instskip(SKIP_1) | instid1(VALU_DEP_2)
	v_add_co_u32 v32, vcc_lo, v41, s2
	s_wait_alu 0xfffd
	v_add_co_ci_u32_e32 v33, vcc_lo, s3, v42, vcc_lo
	global_load_b128 v[62:65], v[41:42], off
	v_add_co_u32 v34, vcc_lo, v32, s4
	s_wait_alu 0xfffd
	v_add_co_ci_u32_e32 v35, vcc_lo, s5, v33, vcc_lo
	global_load_b128 v[66:69], v[32:33], off
	;; [unrolled: 4-line block ×3, first 2 shown]
	v_add_co_u32 v38, vcc_lo, v36, s4
	s_wait_alu 0xfffd
	v_add_co_ci_u32_e32 v39, vcc_lo, s5, v37, vcc_lo
	s_delay_alu instid0(VALU_DEP_2) | instskip(SKIP_1) | instid1(VALU_DEP_2)
	v_add_co_u32 v41, vcc_lo, v38, s2
	s_wait_alu 0xfffd
	v_add_co_ci_u32_e32 v42, vcc_lo, s3, v39, vcc_lo
	global_load_b128 v[74:77], v[36:37], off
	global_load_b128 v[11:14], v45, s[8:9] offset:5632
	global_load_b128 v[78:81], v[38:39], off
	global_load_b128 v[17:20], v45, s[8:9] offset:12672
	global_load_b128 v[82:85], v[41:42], off
	v_cmp_eq_u32_e32 vcc_lo, 1, v40
	s_load_b128 s[4:7], s[6:7], 0x0
	v_add_co_u32 v136, s2, s8, v45
	s_wait_alu 0xf1ff
	v_add_co_ci_u32_e64 v137, null, s9, 0, s2
	v_cndmask_b32_e64 v40, 0, 0x370, vcc_lo
	v_cmp_gt_u16_e32 vcc_lo, 0x50, v44
	s_delay_alu instid0(VALU_DEP_2) | instskip(NEXT) | instid1(VALU_DEP_1)
	v_lshlrev_b32_e32 v205, 4, v40
	v_add_nc_u32_e32 v204, v205, v45
	s_wait_loadcnt 0xd
	scratch_store_b128 off, v[0:3], off     ; 16-byte Folded Spill
	s_wait_loadcnt 0xc
	scratch_store_b128 off, v[7:10], off offset:16 ; 16-byte Folded Spill
	s_wait_loadcnt 0xb
	v_mul_f64_e32 v[41:42], v[48:49], v[224:225]
	v_mul_f64_e32 v[86:87], v[46:47], v[224:225]
	s_wait_loadcnt 0xa
	v_mul_f64_e32 v[88:89], v[52:53], v[220:221]
	v_mul_f64_e32 v[90:91], v[50:51], v[220:221]
	;; [unrolled: 3-line block ×7, first 2 shown]
	v_lshl_add_u32 v2, v16, 5, v205
	v_fma_f64 v[46:47], v[46:47], v[222:223], v[41:42]
	s_wait_loadcnt 0x4
	v_mul_f64_e32 v[112:113], v[76:77], v[9:10]
	v_mul_f64_e32 v[114:115], v[74:75], v[9:10]
	s_wait_loadcnt 0x2
	v_mul_f64_e32 v[116:117], v[80:81], v[13:14]
	v_mul_f64_e32 v[118:119], v[78:79], v[13:14]
	;; [unrolled: 3-line block ×3, first 2 shown]
	v_fma_f64 v[48:49], v[48:49], v[222:223], -v[86:87]
	v_fma_f64 v[50:51], v[50:51], v[218:219], v[88:89]
	v_fma_f64 v[52:53], v[52:53], v[218:219], -v[90:91]
	s_clause 0x1
	scratch_store_b128 off, v[11:14], off offset:32
	scratch_store_b128 off, v[17:20], off offset:48
	v_fma_f64 v[54:55], v[54:55], v[237:238], v[92:93]
	v_fma_f64 v[56:57], v[56:57], v[237:238], -v[94:95]
	v_fma_f64 v[58:59], v[58:59], v[241:242], v[96:97]
	v_fma_f64 v[60:61], v[60:61], v[241:242], -v[98:99]
	v_and_b32_e32 v94, 1, v16
	v_lshl_add_u32 v20, v228, 5, v205
	v_and_b32_e32 v99, 3, v16
	v_fma_f64 v[62:63], v[62:63], v[249:250], v[100:101]
	v_fma_f64 v[64:65], v[64:65], v[249:250], -v[102:103]
	v_fma_f64 v[66:67], v[66:67], v[245:246], v[104:105]
	v_fma_f64 v[68:69], v[68:69], v[245:246], -v[106:107]
	;; [unrolled: 2-line block ×6, first 2 shown]
	ds_store_b128 v204, v[46:49]
	ds_store_b128 v204, v[54:57] offset:1408
	ds_store_b128 v204, v[58:61] offset:8448
	ds_store_b128 v204, v[66:69] offset:9856
	ds_store_b128 v204, v[62:65] offset:2816
	ds_store_b128 v204, v[70:73] offset:4224
	ds_store_b128 v204, v[50:53] offset:7040
	ds_store_b128 v204, v[78:81] offset:5632
	ds_store_b128 v204, v[74:77] offset:11264
	ds_store_b128 v204, v[82:85] offset:12672
	global_wb scope:SCOPE_SE
	s_wait_storecnt_dscnt 0x0
	s_wait_kmcnt 0x0
	s_barrier_signal -1
	s_barrier_wait -1
	global_inv scope:SCOPE_SE
	ds_load_b128 v[40:43], v204 offset:7040
	ds_load_b128 v[46:49], v204
	ds_load_b128 v[50:53], v204 offset:1408
	ds_load_b128 v[54:57], v204 offset:8448
	;; [unrolled: 1-line block ×8, first 2 shown]
	global_wb scope:SCOPE_SE
	s_wait_dscnt 0x0
	s_barrier_signal -1
	s_barrier_wait -1
	global_inv scope:SCOPE_SE
	v_add_f64_e64 v[40:41], v[46:47], -v[40:41]
	v_add_f64_e64 v[42:43], v[48:49], -v[42:43]
	;; [unrolled: 1-line block ×10, first 2 shown]
	v_fma_f64 v[86:87], v[46:47], 2.0, -v[40:41]
	v_fma_f64 v[88:89], v[48:49], 2.0, -v[42:43]
	;; [unrolled: 1-line block ×10, first 2 shown]
	v_lshlrev_b32_e32 v46, 1, v16
	v_lshlrev_b32_e32 v74, 4, v94
	s_delay_alu instid0(VALU_DEP_2) | instskip(SKIP_3) | instid1(VALU_DEP_4)
	v_add_nc_u32_e32 v47, 0x160, v46
	v_add_nc_u32_e32 v56, 0x210, v46
	v_add_nc_u32_e32 v57, 0x2c0, v46
	v_and_or_b32 v44, 0xf0, v46, v132
	v_lshl_add_u32 v39, v47, 4, v205
	s_delay_alu instid0(VALU_DEP_4) | instskip(NEXT) | instid1(VALU_DEP_4)
	v_lshl_add_u32 v36, v56, 4, v205
	v_lshl_add_u32 v5, v57, 4, v205
	v_and_or_b32 v95, 0x3fc, v47, v94
	ds_store_b128 v2, v[86:89]
	ds_store_b128 v2, v[40:43] offset:16
	ds_store_b128 v20, v[48:51]
	ds_store_b128 v20, v[82:85] offset:16
	ds_store_b128 v39, v[52:55]
	ds_store_b128 v39, v[58:61] offset:16
	ds_store_b128 v36, v[62:65]
	ds_store_b128 v36, v[70:73] offset:16
	ds_store_b128 v5, v[66:69]
	ds_store_b128 v5, v[78:81] offset:16
	global_wb scope:SCOPE_SE
	s_wait_dscnt 0x0
	s_barrier_signal -1
	s_barrier_wait -1
	global_inv scope:SCOPE_SE
	global_load_b128 v[52:55], v74, s[10:11]
	ds_load_b128 v[40:43], v204 offset:7040
	ds_load_b128 v[48:51], v204 offset:8448
	;; [unrolled: 1-line block ×6, first 2 shown]
	v_and_or_b32 v96, 0x3fc, v56, v94
	v_lshl_add_u32 v33, v95, 4, v205
	v_and_or_b32 v100, 0x3f8, v56, v99
	v_lshl_add_u32 v156, v44, 4, v205
	s_delay_alu instid0(VALU_DEP_4) | instskip(NEXT) | instid1(VALU_DEP_3)
	v_lshl_add_u32 v34, v96, 4, v205
	v_lshl_add_u32 v203, v100, 4, v205
	s_wait_loadcnt_dscnt 0x5
	v_mul_f64_e32 v[74:75], v[42:43], v[54:55]
	v_mul_f64_e32 v[76:77], v[40:41], v[54:55]
	s_wait_dscnt 0x4
	v_mul_f64_e32 v[78:79], v[50:51], v[54:55]
	v_mul_f64_e32 v[80:81], v[48:49], v[54:55]
	s_wait_dscnt 0x3
	;; [unrolled: 3-line block ×4, first 2 shown]
	v_mul_f64_e32 v[90:91], v[68:69], v[54:55]
	v_mul_f64_e32 v[92:93], v[66:67], v[54:55]
	v_fma_f64 v[74:75], v[40:41], v[52:53], -v[74:75]
	v_fma_f64 v[76:77], v[42:43], v[52:53], v[76:77]
	v_fma_f64 v[78:79], v[48:49], v[52:53], -v[78:79]
	v_fma_f64 v[80:81], v[50:51], v[52:53], v[80:81]
	;; [unrolled: 2-line block ×5, first 2 shown]
	ds_load_b128 v[40:43], v204
	ds_load_b128 v[48:51], v204 offset:1408
	ds_load_b128 v[58:61], v204 offset:2816
	;; [unrolled: 1-line block ×3, first 2 shown]
	global_wb scope:SCOPE_SE
	s_wait_dscnt 0x0
	s_barrier_signal -1
	s_barrier_wait -1
	global_inv scope:SCOPE_SE
	v_add_f64_e64 v[66:67], v[40:41], -v[74:75]
	v_add_f64_e64 v[68:69], v[42:43], -v[76:77]
	;; [unrolled: 1-line block ×10, first 2 shown]
	v_fma_f64 v[40:41], v[40:41], 2.0, -v[66:67]
	v_fma_f64 v[42:43], v[42:43], 2.0, -v[68:69]
	;; [unrolled: 1-line block ×10, first 2 shown]
	v_lshlrev_b32_e32 v58, 1, v228
	v_and_or_b32 v63, 0xfc, v46, v94
	v_lshlrev_b32_e32 v64, 4, v99
	s_delay_alu instid0(VALU_DEP_3) | instskip(SKIP_1) | instid1(VALU_DEP_4)
	v_and_or_b32 v65, 0x1fc, v58, v94
	v_and_or_b32 v94, 0x3fc, v57, v94
	v_lshl_add_u32 v27, v63, 4, v205
	v_and_or_b32 v45, 0x1f0, v58, v132
	s_delay_alu instid0(VALU_DEP_4) | instskip(NEXT) | instid1(VALU_DEP_4)
	v_lshl_add_u32 v26, v65, 4, v205
	v_lshl_add_u32 v31, v94, 4, v205
	ds_store_b128 v27, v[40:43]
	ds_store_b128 v27, v[66:69] offset:32
	ds_store_b128 v26, v[48:51]
	ds_store_b128 v26, v[74:77] offset:32
	;; [unrolled: 2-line block ×5, first 2 shown]
	global_wb scope:SCOPE_SE
	s_wait_dscnt 0x0
	s_barrier_signal -1
	s_barrier_wait -1
	global_inv scope:SCOPE_SE
	global_load_b128 v[48:51], v64, s[10:11] offset:32
	ds_load_b128 v[40:43], v204 offset:7040
	ds_load_b128 v[59:62], v204 offset:8448
	;; [unrolled: 1-line block ×6, first 2 shown]
	v_lshl_add_u32 v0, v45, 4, v205
	s_wait_loadcnt_dscnt 0x5
	v_mul_f64_e32 v[79:80], v[42:43], v[50:51]
	v_mul_f64_e32 v[81:82], v[40:41], v[50:51]
	s_wait_dscnt 0x4
	v_mul_f64_e32 v[83:84], v[61:62], v[50:51]
	v_mul_f64_e32 v[85:86], v[59:60], v[50:51]
	s_wait_dscnt 0x3
	;; [unrolled: 3-line block ×4, first 2 shown]
	v_mul_f64_e32 v[95:96], v[73:74], v[50:51]
	v_mul_f64_e32 v[97:98], v[71:72], v[50:51]
	v_fma_f64 v[79:80], v[40:41], v[48:49], -v[79:80]
	v_fma_f64 v[81:82], v[42:43], v[48:49], v[81:82]
	v_fma_f64 v[83:84], v[59:60], v[48:49], -v[83:84]
	v_fma_f64 v[85:86], v[61:62], v[48:49], v[85:86]
	;; [unrolled: 2-line block ×5, first 2 shown]
	ds_load_b128 v[40:43], v204
	ds_load_b128 v[59:62], v204 offset:1408
	ds_load_b128 v[63:66], v204 offset:2816
	ds_load_b128 v[67:70], v204 offset:4224
	global_wb scope:SCOPE_SE
	s_wait_dscnt 0x0
	s_barrier_signal -1
	s_barrier_wait -1
	global_inv scope:SCOPE_SE
	v_add_f64_e64 v[71:72], v[40:41], -v[79:80]
	v_add_f64_e64 v[73:74], v[42:43], -v[81:82]
	v_add_f64_e64 v[79:80], v[59:60], -v[83:84]
	v_add_f64_e64 v[81:82], v[61:62], -v[85:86]
	v_add_f64_e64 v[83:84], v[63:64], -v[87:88]
	v_add_f64_e64 v[85:86], v[65:66], -v[89:90]
	v_add_f64_e64 v[87:88], v[67:68], -v[91:92]
	v_add_f64_e64 v[89:90], v[69:70], -v[93:94]
	v_add_f64_e64 v[91:92], v[75:76], -v[95:96]
	v_add_f64_e64 v[93:94], v[77:78], -v[97:98]
	v_and_or_b32 v95, 0xf8, v46, v99
	v_and_or_b32 v97, 0x1f8, v58, v99
	v_and_or_b32 v98, 0x3f8, v47, v99
	v_lshlrev_b32_e32 v96, 4, v132
	v_and_or_b32 v99, 0x3f8, v57, v99
	v_lshl_add_u32 v37, v95, 4, v205
	v_lshl_add_u32 v38, v97, 4, v205
	;; [unrolled: 1-line block ×3, first 2 shown]
	v_and_or_b32 v46, 0x3f0, v47, v132
	v_lshl_add_u32 v30, v99, 4, v205
	v_and_or_b32 v47, 0x3f0, v56, v132
	v_and_or_b32 v56, 0x3f0, v57, v132
                                        ; implicit-def: $vgpr132_vgpr133
	s_delay_alu instid0(VALU_DEP_4) | instskip(NEXT) | instid1(VALU_DEP_3)
	v_lshl_add_u32 v227, v46, 4, v205
	v_lshl_add_u32 v207, v47, 4, v205
	s_delay_alu instid0(VALU_DEP_3)
	v_lshl_add_u32 v206, v56, 4, v205
	v_fma_f64 v[40:41], v[40:41], 2.0, -v[71:72]
	v_fma_f64 v[42:43], v[42:43], 2.0, -v[73:74]
	;; [unrolled: 1-line block ×10, first 2 shown]
	ds_store_b128 v37, v[40:43]
	ds_store_b128 v37, v[71:74] offset:64
	ds_store_b128 v38, v[59:62]
	ds_store_b128 v38, v[79:82] offset:64
	;; [unrolled: 2-line block ×5, first 2 shown]
	global_wb scope:SCOPE_SE
	s_wait_dscnt 0x0
	s_barrier_signal -1
	s_barrier_wait -1
	global_inv scope:SCOPE_SE
	global_load_b128 v[40:43], v96, s[10:11] offset:96
	ds_load_b128 v[59:62], v204 offset:7040
	ds_load_b128 v[63:66], v204 offset:8448
	;; [unrolled: 1-line block ×6, first 2 shown]
	s_wait_loadcnt_dscnt 0x5
	v_mul_f64_e32 v[83:84], v[61:62], v[42:43]
	v_mul_f64_e32 v[85:86], v[59:60], v[42:43]
	s_wait_dscnt 0x4
	v_mul_f64_e32 v[87:88], v[65:66], v[42:43]
	v_mul_f64_e32 v[89:90], v[63:64], v[42:43]
	s_wait_dscnt 0x3
	;; [unrolled: 3-line block ×4, first 2 shown]
	v_mul_f64_e32 v[99:100], v[77:78], v[42:43]
	v_mul_f64_e32 v[101:102], v[75:76], v[42:43]
	v_fma_f64 v[83:84], v[59:60], v[40:41], -v[83:84]
	v_fma_f64 v[85:86], v[61:62], v[40:41], v[85:86]
	v_fma_f64 v[87:88], v[63:64], v[40:41], -v[87:88]
	v_fma_f64 v[89:90], v[65:66], v[40:41], v[89:90]
	v_fma_f64 v[91:92], v[67:68], v[40:41], -v[91:92]
	v_fma_f64 v[93:94], v[69:70], v[40:41], v[93:94]
	v_fma_f64 v[108:109], v[71:72], v[40:41], -v[95:96]
	v_fma_f64 v[110:111], v[73:74], v[40:41], v[97:98]
	v_fma_f64 v[75:76], v[75:76], v[40:41], -v[99:100]
	v_fma_f64 v[77:78], v[77:78], v[40:41], v[101:102]
	ds_load_b128 v[59:62], v204
	ds_load_b128 v[63:66], v204 offset:1408
	ds_load_b128 v[67:70], v204 offset:2816
	;; [unrolled: 1-line block ×3, first 2 shown]
	global_wb scope:SCOPE_SE
	s_wait_dscnt 0x0
	s_barrier_signal -1
	s_barrier_wait -1
	global_inv scope:SCOPE_SE
	v_add_f64_e64 v[100:101], v[59:60], -v[83:84]
	v_add_f64_e64 v[102:103], v[61:62], -v[85:86]
	;; [unrolled: 1-line block ×10, first 2 shown]
	v_fma_f64 v[92:93], v[59:60], 2.0, -v[100:101]
	v_fma_f64 v[94:95], v[61:62], 2.0, -v[102:103]
	;; [unrolled: 1-line block ×10, first 2 shown]
	ds_store_b128 v156, v[92:95]
	ds_store_b128 v156, v[100:103] offset:128
	ds_store_b128 v0, v[120:123]
	ds_store_b128 v0, v[104:107] offset:128
	;; [unrolled: 2-line block ×5, first 2 shown]
	global_wb scope:SCOPE_SE
	s_wait_dscnt 0x0
	s_barrier_signal -1
	s_barrier_wait -1
	global_inv scope:SCOPE_SE
	s_and_saveexec_b32 s2, vcc_lo
	s_cbranch_execz .LBB0_3
; %bb.2:
	ds_load_b128 v[92:95], v204
	ds_load_b128 v[100:103], v204 offset:1280
	ds_load_b128 v[120:123], v204 offset:2560
	;; [unrolled: 1-line block ×10, first 2 shown]
.LBB0_3:
	s_wait_alu 0xfffe
	s_or_b32 exec_lo, exec_lo, s2
	v_and_b32_e32 v255, 15, v16
	s_mov_b32 s2, 0xf8bb580b
	s_mov_b32 s3, 0xbfe14ced
	;; [unrolled: 1-line block ×4, first 2 shown]
	v_mad_co_u64_u32 v[84:85], null, 0xa0, v255, s[10:11]
	s_mov_b32 s13, 0x3feaeb8c
	s_mov_b32 s15, 0xbfed1bb4
	s_mov_b32 s16, 0xd9c712b6
	s_mov_b32 s18, 0x43842ef
	s_mov_b32 s17, 0x3fda9628
	s_mov_b32 s19, 0xbfefac9e
	s_clause 0x9
	global_load_b128 v[44:47], v[84:85], off offset:224
	global_load_b128 v[56:59], v[84:85], off offset:368
	global_load_b128 v[60:63], v[84:85], off offset:240
	global_load_b128 v[64:67], v[84:85], off offset:352
	global_load_b128 v[72:75], v[84:85], off offset:256
	global_load_b128 v[68:71], v[84:85], off offset:336
	global_load_b128 v[80:83], v[84:85], off offset:272
	global_load_b128 v[76:79], v[84:85], off offset:320
	global_load_b128 v[88:91], v[84:85], off offset:288
	global_load_b128 v[84:87], v[84:85], off offset:304
	s_mov_b32 s20, 0x640f44db
	s_mov_b32 s26, 0xbb3a28a1
	;; [unrolled: 1-line block ×10, first 2 shown]
	v_lshrrev_b32_e32 v226, 4, v16
	global_wb scope:SCOPE_SE
	s_wait_loadcnt_dscnt 0x0
	s_barrier_signal -1
	s_barrier_wait -1
	global_inv scope:SCOPE_SE
	v_mul_f64_e32 v[138:139], v[102:103], v[46:47]
	v_mul_f64_e32 v[140:141], v[100:101], v[46:47]
	;; [unrolled: 1-line block ×10, first 2 shown]
	v_fma_f64 v[187:188], v[100:101], v[44:45], -v[138:139]
	v_fma_f64 v[189:190], v[102:103], v[44:45], v[140:141]
	v_fma_f64 v[102:103], v[134:135], v[56:57], v[142:143]
	v_fma_f64 v[100:101], v[132:133], v[56:57], -v[144:145]
	v_mul_f64_e32 v[138:139], v[106:107], v[74:75]
	v_mul_f64_e32 v[140:141], v[104:105], v[74:75]
	;; [unrolled: 1-line block ×4, first 2 shown]
	v_fma_f64 v[132:133], v[120:121], v[60:61], -v[146:147]
	v_fma_f64 v[134:135], v[122:123], v[60:61], v[148:149]
	v_fma_f64 v[122:123], v[130:131], v[64:65], v[152:153]
	v_fma_f64 v[120:121], v[128:129], v[64:65], -v[150:151]
	v_mul_f64_e32 v[146:147], v[114:115], v[82:83]
	v_mul_f64_e32 v[148:149], v[112:113], v[82:83]
	;; [unrolled: 1-line block ×4, first 2 shown]
	v_add_f64_e64 v[191:192], v[189:190], -v[102:103]
	v_add_f64_e64 v[195:196], v[187:188], -v[100:101]
	v_fma_f64 v[128:129], v[104:105], v[72:73], -v[138:139]
	v_fma_f64 v[130:131], v[106:107], v[72:73], v[140:141]
	v_fma_f64 v[104:105], v[124:125], v[68:69], -v[142:143]
	v_fma_f64 v[106:107], v[126:127], v[68:69], v[144:145]
	v_add_f64_e32 v[193:194], v[187:188], v[100:101]
	v_add_f64_e32 v[197:198], v[189:190], v[102:103]
	v_add_f64_e64 v[154:155], v[134:135], -v[122:123]
	v_add_f64_e64 v[144:145], v[132:133], -v[120:121]
	v_mul_f64_e32 v[124:125], v[98:99], v[90:91]
	v_mul_f64_e32 v[126:127], v[96:97], v[90:91]
	v_fma_f64 v[138:139], v[112:113], v[80:81], -v[146:147]
	v_fma_f64 v[140:141], v[114:115], v[80:81], v[148:149]
	v_fma_f64 v[112:113], v[116:117], v[76:77], -v[150:151]
	v_fma_f64 v[114:115], v[118:119], v[76:77], v[152:153]
	v_add_f64_e32 v[118:119], v[132:133], v[120:121]
	v_add_f64_e32 v[142:143], v[134:135], v[122:123]
	s_wait_alu 0xfffe
	v_mul_f64_e32 v[199:200], s[2:3], v[191:192]
	v_mul_f64_e32 v[201:202], s[2:3], v[195:196]
	v_add_f64_e64 v[152:153], v[128:129], -v[104:105]
	v_add_f64_e64 v[167:168], v[130:131], -v[106:107]
	v_add_f64_e32 v[150:151], v[130:131], v[106:107]
	v_mul_f64_e32 v[208:209], s[14:15], v[154:155]
	v_mul_f64_e32 v[148:149], s[14:15], v[144:145]
	v_fma_f64 v[96:97], v[96:97], v[88:89], -v[124:125]
	v_fma_f64 v[116:117], v[98:99], v[88:89], v[126:127]
	v_fma_f64 v[98:99], v[108:109], v[84:85], -v[157:158]
	v_fma_f64 v[108:109], v[110:111], v[84:85], v[159:160]
	v_add_f64_e32 v[110:111], v[128:129], v[104:105]
	v_add_f64_e64 v[165:166], v[138:139], -v[112:113]
	v_add_f64_e64 v[181:182], v[140:141], -v[114:115]
	v_fma_f64 v[161:162], v[193:194], s[12:13], v[199:200]
	v_fma_f64 v[163:164], v[197:198], s[12:13], -v[201:202]
	v_mul_f64_e32 v[159:160], s[18:19], v[152:153]
	v_mul_f64_e32 v[157:158], s[18:19], v[167:168]
	v_fma_f64 v[124:125], v[118:119], s[16:17], v[208:209]
	v_fma_f64 v[126:127], v[142:143], s[16:17], -v[148:149]
	v_add_f64_e64 v[183:184], v[96:97], -v[98:99]
	v_add_f64_e64 v[185:186], v[116:117], -v[108:109]
	v_mul_f64_e32 v[171:172], s[26:27], v[165:166]
	v_mul_f64_e32 v[169:170], s[26:27], v[181:182]
	v_add_f64_e32 v[173:174], v[92:93], v[161:162]
	v_add_f64_e32 v[175:176], v[94:95], v[163:164]
	;; [unrolled: 1-line block ×4, first 2 shown]
	v_fma_f64 v[231:232], v[150:151], s[20:21], -v[159:160]
	v_fma_f64 v[229:230], v[110:111], s[20:21], v[157:158]
	v_mul_f64_e32 v[179:180], s[28:29], v[183:184]
	v_mul_f64_e32 v[177:178], s[28:29], v[185:186]
	v_add_f64_e32 v[124:125], v[124:125], v[173:174]
	v_add_f64_e32 v[126:127], v[126:127], v[175:176]
	;; [unrolled: 1-line block ×4, first 2 shown]
	v_fma_f64 v[233:234], v[161:162], s[22:23], v[169:170]
	v_fma_f64 v[235:236], v[163:164], s[22:23], -v[171:172]
	v_add_f64_e32 v[124:125], v[229:230], v[124:125]
	v_add_f64_e32 v[126:127], v[231:232], v[126:127]
	v_fma_f64 v[229:230], v[173:174], s[24:25], v[177:178]
	v_fma_f64 v[231:232], v[175:176], s[24:25], -v[179:180]
	s_delay_alu instid0(VALU_DEP_4) | instskip(NEXT) | instid1(VALU_DEP_4)
	v_add_f64_e32 v[124:125], v[233:234], v[124:125]
	v_add_f64_e32 v[126:127], v[235:236], v[126:127]
	s_delay_alu instid0(VALU_DEP_2) | instskip(NEXT) | instid1(VALU_DEP_2)
	v_add_f64_e32 v[124:125], v[229:230], v[124:125]
	v_add_f64_e32 v[126:127], v[231:232], v[126:127]
	s_and_saveexec_b32 s33, vcc_lo
	s_cbranch_execz .LBB0_5
; %bb.4:
	v_dual_mov_b32 v10, v237 :: v_dual_mov_b32 v11, v238
	v_mov_b32_e32 v32, v16
	v_dual_mov_b32 v14, v241 :: v_dual_mov_b32 v17, v244
	v_mul_f64_e32 v[229:230], s[24:25], v[197:198]
	v_mul_f64_e32 v[233:234], s[22:23], v[197:198]
	v_dual_mov_b32 v12, v239 :: v_dual_mov_b32 v13, v240
	v_mul_f64_e32 v[237:238], s[20:21], v[197:198]
	v_dual_mov_b32 v15, v242 :: v_dual_mov_b32 v16, v243
	v_mul_f64_e32 v[241:242], s[16:17], v[197:198]
	v_mul_f64_e32 v[197:198], s[12:13], v[197:198]
	s_mov_b32 s39, 0x3fefac9e
	s_mov_b32 s38, s18
	;; [unrolled: 1-line block ×8, first 2 shown]
	v_mov_b32_e32 v146, v20
	v_dual_mov_b32 v18, v245 :: v_dual_mov_b32 v19, v246
	v_dual_mov_b32 v20, v247 :: v_dual_mov_b32 v21, v248
	v_mul_f64_e32 v[245:246], s[18:19], v[191:192]
	v_dual_mov_b32 v22, v249 :: v_dual_mov_b32 v1, v2
	v_dual_mov_b32 v23, v250 :: v_dual_mov_b32 v24, v251
	v_mov_b32_e32 v25, v252
	v_add_f64_e32 v[28:29], v[94:95], v[189:190]
	s_mov_b32 s41, 0x3fe14ced
	s_mov_b32 s40, s2
	v_mul_f64_e32 v[214:215], s[20:21], v[175:176]
	v_mul_f64_e32 v[216:217], s[18:19], v[185:186]
	;; [unrolled: 1-line block ×3, first 2 shown]
	v_fma_f64 v[231:232], v[195:196], s[36:37], v[229:230]
	v_fma_f64 v[229:230], v[195:196], s[28:29], v[229:230]
	;; [unrolled: 1-line block ×8, first 2 shown]
	v_add_f64_e32 v[197:198], v[201:202], v[197:198]
	v_mul_f64_e32 v[201:202], s[28:29], v[191:192]
	v_mul_f64_e32 v[241:242], s[26:27], v[191:192]
	v_mul_f64_e32 v[191:192], s[14:15], v[191:192]
	v_fma_f64 v[251:252], v[193:194], s[20:21], -v[245:246]
	v_fma_f64 v[245:246], v[193:194], s[20:21], v[245:246]
	scratch_store_b64 off, v[28:29], off offset:64 ; 8-byte Folded Spill
	v_add_f64_e32 v[28:29], v[92:93], v[187:188]
	v_add_f64_e32 v[187:188], v[94:95], v[231:232]
	;; [unrolled: 1-line block ×5, first 2 shown]
	v_fma_f64 v[247:248], v[193:194], s[24:25], v[201:202]
	v_fma_f64 v[201:202], v[193:194], s[24:25], -v[201:202]
	v_fma_f64 v[249:250], v[193:194], s[22:23], v[241:242]
	v_fma_f64 v[241:242], v[193:194], s[22:23], -v[241:242]
	v_fma_f64 v[253:254], v[193:194], s[16:17], -v[191:192]
	v_fma_f64 v[191:192], v[193:194], s[16:17], v[191:192]
	v_mul_f64_e32 v[193:194], s[12:13], v[193:194]
	v_add_f64_e32 v[245:246], v[92:93], v[245:246]
	scratch_store_b64 off, v[28:29], off offset:72 ; 8-byte Folded Spill
	v_mov_b32_e32 v29, v5
	v_mul_f64_e32 v[4:5], s[12:13], v[175:176]
	v_mov_b32_e32 v28, v6
	v_dual_mov_b32 v6, v222 :: v_dual_mov_b32 v9, v225
	v_dual_mov_b32 v7, v223 :: v_dual_mov_b32 v8, v224
	v_mul_f64_e32 v[222:223], s[40:41], v[185:186]
	v_mul_f64_e32 v[224:225], s[22:23], v[175:176]
	v_add_f64_e32 v[189:190], v[92:93], v[247:248]
	v_add_f64_e32 v[247:248], v[92:93], v[251:252]
	;; [unrolled: 1-line block ×6, first 2 shown]
	v_add_f64_e64 v[193:194], v[193:194], -v[199:200]
	v_mul_f64_e32 v[191:192], s[12:13], v[142:143]
	v_add_f64_e32 v[199:200], v[94:95], v[229:230]
	v_add_f64_e32 v[229:230], v[94:95], v[235:236]
	;; [unrolled: 1-line block ×7, first 2 shown]
	v_fma_f64 v[92:93], v[144:145], s[2:3], v[191:192]
	v_fma_f64 v[191:192], v[144:145], s[40:41], v[191:192]
	s_delay_alu instid0(VALU_DEP_2) | instskip(SKIP_1) | instid1(VALU_DEP_3)
	v_add_f64_e32 v[92:93], v[92:93], v[187:188]
	v_mul_f64_e32 v[187:188], s[40:41], v[154:155]
	v_add_f64_e32 v[191:192], v[191:192], v[199:200]
	v_mul_f64_e32 v[199:200], s[12:13], v[150:151]
	s_delay_alu instid0(VALU_DEP_3) | instskip(SKIP_1) | instid1(VALU_DEP_2)
	v_fma_f64 v[94:95], v[118:119], s[12:13], v[187:188]
	v_fma_f64 v[187:188], v[118:119], s[12:13], -v[187:188]
	v_add_f64_e32 v[94:95], v[94:95], v[189:190]
	v_mul_f64_e32 v[189:190], s[22:23], v[150:151]
	s_delay_alu instid0(VALU_DEP_3) | instskip(SKIP_2) | instid1(VALU_DEP_4)
	v_add_f64_e32 v[187:188], v[187:188], v[201:202]
	v_fma_f64 v[201:202], v[152:153], s[40:41], v[199:200]
	v_fma_f64 v[199:200], v[152:153], s[2:3], v[199:200]
	;; [unrolled: 1-line block ×4, first 2 shown]
	s_delay_alu instid0(VALU_DEP_2) | instskip(SKIP_1) | instid1(VALU_DEP_3)
	v_add_f64_e32 v[92:93], v[193:194], v[92:93]
	v_mul_f64_e32 v[193:194], s[26:27], v[167:168]
	v_add_f64_e32 v[189:190], v[189:190], v[191:192]
	s_delay_alu instid0(VALU_DEP_2) | instskip(SKIP_2) | instid1(VALU_DEP_3)
	v_fma_f64 v[195:196], v[110:111], s[22:23], v[193:194]
	v_fma_f64 v[191:192], v[110:111], s[22:23], -v[193:194]
	v_fma_f64 v[193:194], v[173:174], s[20:21], -v[216:217]
	v_add_f64_e32 v[94:95], v[195:196], v[94:95]
	v_mul_f64_e32 v[195:196], s[16:17], v[163:164]
	s_delay_alu instid0(VALU_DEP_4) | instskip(NEXT) | instid1(VALU_DEP_2)
	v_add_f64_e32 v[187:188], v[191:192], v[187:188]
	v_fma_f64 v[197:198], v[165:166], s[14:15], v[195:196]
	v_fma_f64 v[191:192], v[165:166], s[34:35], v[195:196]
	v_mul_f64_e32 v[195:196], s[20:21], v[142:143]
	s_delay_alu instid0(VALU_DEP_3) | instskip(SKIP_1) | instid1(VALU_DEP_4)
	v_add_f64_e32 v[92:93], v[197:198], v[92:93]
	v_mul_f64_e32 v[197:198], s[34:35], v[181:182]
	v_add_f64_e32 v[189:190], v[191:192], v[189:190]
	s_delay_alu instid0(VALU_DEP_2) | instskip(SKIP_2) | instid1(VALU_DEP_3)
	v_fma_f64 v[191:192], v[161:162], s[16:17], -v[197:198]
	v_fma_f64 v[212:213], v[161:162], s[16:17], v[197:198]
	v_mul_f64_e32 v[197:198], s[38:39], v[154:155]
	v_add_f64_e32 v[187:188], v[191:192], v[187:188]
	v_fma_f64 v[191:192], v[183:184], s[18:19], v[214:215]
	s_delay_alu instid0(VALU_DEP_4) | instskip(SKIP_1) | instid1(VALU_DEP_4)
	v_add_f64_e32 v[212:213], v[212:213], v[94:95]
	v_fma_f64 v[94:95], v[183:184], s[38:39], v[214:215]
	v_add_f64_e32 v[187:188], v[193:194], v[187:188]
	s_delay_alu instid0(VALU_DEP_4) | instskip(SKIP_1) | instid1(VALU_DEP_4)
	v_add_f64_e32 v[189:190], v[191:192], v[189:190]
	v_fma_f64 v[191:192], v[144:145], s[18:19], v[195:196]
	v_add_f64_e32 v[94:95], v[94:95], v[92:93]
	v_fma_f64 v[92:93], v[173:174], s[20:21], v[216:217]
	v_fma_f64 v[193:194], v[118:119], s[20:21], v[197:198]
	;; [unrolled: 1-line block ×3, first 2 shown]
	v_fma_f64 v[197:198], v[118:119], s[20:21], -v[197:198]
	v_add_f64_e32 v[191:192], v[191:192], v[229:230]
	v_mul_f64_e32 v[229:230], s[16:17], v[175:176]
	v_add_f64_e32 v[92:93], v[92:93], v[212:213]
	v_add_f64_e32 v[193:194], v[193:194], v[231:232]
	;; [unrolled: 1-line block ×4, first 2 shown]
	v_mul_f64_e32 v[231:232], s[34:35], v[185:186]
	v_mul_f64_e32 v[233:234], s[24:25], v[142:143]
	;; [unrolled: 1-line block ×4, first 2 shown]
	v_add_f64_e32 v[191:192], v[201:202], v[191:192]
	v_mul_f64_e32 v[201:202], s[2:3], v[167:168]
	v_add_f64_e32 v[195:196], v[199:200], v[195:196]
	s_delay_alu instid0(VALU_DEP_2) | instskip(SKIP_2) | instid1(VALU_DEP_3)
	v_fma_f64 v[212:213], v[110:111], s[12:13], v[201:202]
	v_fma_f64 v[199:200], v[110:111], s[12:13], -v[201:202]
	v_fma_f64 v[201:202], v[173:174], s[16:17], -v[231:232]
	v_add_f64_e32 v[193:194], v[212:213], v[193:194]
	v_mul_f64_e32 v[212:213], s[24:25], v[163:164]
	s_delay_alu instid0(VALU_DEP_4) | instskip(NEXT) | instid1(VALU_DEP_2)
	v_add_f64_e32 v[197:198], v[199:200], v[197:198]
	v_fma_f64 v[214:215], v[165:166], s[36:37], v[212:213]
	v_fma_f64 v[199:200], v[165:166], s[28:29], v[212:213]
	v_mul_f64_e32 v[212:213], s[22:23], v[142:143]
	v_mul_f64_e32 v[142:143], s[16:17], v[142:143]
	s_delay_alu instid0(VALU_DEP_4)
	v_add_f64_e32 v[191:192], v[214:215], v[191:192]
	v_mul_f64_e32 v[214:215], s[28:29], v[181:182]
	v_add_f64_e32 v[195:196], v[199:200], v[195:196]
	v_mul_f64_e32 v[181:182], s[2:3], v[181:182]
	;; [unrolled: 2-line block ×3, first 2 shown]
	v_fma_f64 v[216:217], v[161:162], s[24:25], v[214:215]
	v_fma_f64 v[199:200], v[161:162], s[24:25], -v[214:215]
	v_mul_f64_e32 v[214:215], s[26:27], v[154:155]
	v_mul_f64_e32 v[154:155], s[36:37], v[154:155]
	v_add_f64_e32 v[142:143], v[142:143], v[253:254]
	v_add_f64_e64 v[148:149], v[148:149], -v[169:170]
	v_add_f64_e32 v[216:217], v[216:217], v[193:194]
	v_fma_f64 v[193:194], v[183:184], s[14:15], v[229:230]
	v_add_f64_e32 v[199:200], v[199:200], v[197:198]
	v_fma_f64 v[197:198], v[183:184], s[34:35], v[229:230]
	s_delay_alu instid0(VALU_DEP_3) | instskip(SKIP_1) | instid1(VALU_DEP_3)
	v_add_f64_e32 v[193:194], v[193:194], v[191:192]
	v_fma_f64 v[191:192], v[173:174], s[16:17], v[231:232]
	v_add_f64_e32 v[197:198], v[197:198], v[195:196]
	v_add_f64_e32 v[195:196], v[201:202], v[199:200]
	v_fma_f64 v[199:200], v[144:145], s[26:27], v[212:213]
	v_fma_f64 v[201:202], v[118:119], s[22:23], -v[214:215]
	v_fma_f64 v[231:232], v[118:119], s[24:25], -v[154:155]
	v_fma_f64 v[154:155], v[118:119], s[24:25], v[154:155]
	v_add_f64_e32 v[191:192], v[191:192], v[216:217]
	v_mul_f64_e32 v[216:217], s[24:25], v[150:151]
	v_add_f64_e32 v[199:200], v[199:200], v[241:242]
	v_mul_f64_e32 v[241:242], s[36:37], v[167:168]
	;; [unrolled: 2-line block ×3, first 2 shown]
	v_mul_f64_e32 v[167:168], s[34:35], v[167:168]
	v_add_f64_e32 v[231:232], v[231:232], v[247:248]
	v_add_f64_e32 v[154:155], v[154:155], v[245:246]
	v_fma_f64 v[229:230], v[152:153], s[36:37], v[216:217]
	s_delay_alu instid0(VALU_DEP_1) | instskip(SKIP_1) | instid1(VALU_DEP_1)
	v_add_f64_e32 v[199:200], v[229:230], v[199:200]
	v_fma_f64 v[229:230], v[110:111], s[24:25], -v[241:242]
	v_add_f64_e32 v[201:202], v[229:230], v[201:202]
	v_fma_f64 v[229:230], v[165:166], s[38:39], v[243:244]
	s_delay_alu instid0(VALU_DEP_1) | instskip(SKIP_1) | instid1(VALU_DEP_1)
	v_add_f64_e32 v[199:200], v[229:230], v[199:200]
	v_fma_f64 v[229:230], v[161:162], s[20:21], -v[2:3]
	v_add_f64_e32 v[229:230], v[229:230], v[201:202]
	v_fma_f64 v[201:202], v[183:184], s[40:41], v[4:5]
	s_delay_alu instid0(VALU_DEP_1) | instskip(SKIP_1) | instid1(VALU_DEP_1)
	v_add_f64_e32 v[201:202], v[201:202], v[199:200]
	v_fma_f64 v[199:200], v[173:174], s[12:13], -v[222:223]
	v_add_f64_e32 v[199:200], v[199:200], v[229:230]
	v_fma_f64 v[229:230], v[144:145], s[36:37], v[233:234]
	v_fma_f64 v[233:234], v[144:145], s[28:29], v[233:234]
	;; [unrolled: 1-line block ×3, first 2 shown]
	s_delay_alu instid0(VALU_DEP_3) | instskip(SKIP_1) | instid1(VALU_DEP_4)
	v_add_f64_e32 v[229:230], v[229:230], v[239:240]
	v_fma_f64 v[239:240], v[152:153], s[34:35], v[235:236]
	v_add_f64_e32 v[233:234], v[233:234], v[237:238]
	v_fma_f64 v[235:236], v[152:153], s[14:15], v[235:236]
	;; [unrolled: 2-line block ×3, first 2 shown]
	v_add_f64_e32 v[229:230], v[239:240], v[229:230]
	v_fma_f64 v[239:240], v[110:111], s[16:17], -v[167:168]
	v_fma_f64 v[167:168], v[110:111], s[16:17], v[167:168]
	v_add_f64_e32 v[233:234], v[235:236], v[233:234]
	v_add_f64_e32 v[144:145], v[152:153], v[144:145]
	v_fma_f64 v[152:153], v[110:111], s[24:25], v[241:242]
	v_mul_f64_e32 v[110:111], s[20:21], v[110:111]
	v_add_f64_e32 v[231:232], v[239:240], v[231:232]
	v_mul_f64_e32 v[239:240], s[12:13], v[163:164]
	v_add_f64_e32 v[154:155], v[167:168], v[154:155]
	s_delay_alu instid0(VALU_DEP_4) | instskip(NEXT) | instid1(VALU_DEP_3)
	v_add_f64_e64 v[110:111], v[110:111], -v[157:158]
	v_fma_f64 v[247:248], v[165:166], s[2:3], v[239:240]
	v_fma_f64 v[167:168], v[165:166], s[40:41], v[239:240]
	v_mov_b32_e32 v240, v13
	v_dual_mov_b32 v238, v11 :: v_dual_mov_b32 v239, v12
	v_mov_b32_e32 v237, v10
	v_add_f64_e32 v[229:230], v[247:248], v[229:230]
	v_fma_f64 v[247:248], v[161:162], s[12:13], -v[181:182]
	v_fma_f64 v[181:182], v[161:162], s[12:13], v[181:182]
	v_add_f64_e32 v[167:168], v[167:168], v[233:234]
	s_delay_alu instid0(VALU_DEP_3) | instskip(SKIP_1) | instid1(VALU_DEP_4)
	v_add_f64_e32 v[247:248], v[247:248], v[231:232]
	v_fma_f64 v[231:232], v[183:184], s[26:27], v[224:225]
	v_add_f64_e32 v[154:155], v[181:182], v[154:155]
	v_fma_f64 v[181:182], v[183:184], s[30:31], v[224:225]
	s_delay_alu instid0(VALU_DEP_3) | instskip(SKIP_1) | instid1(VALU_DEP_3)
	v_add_f64_e32 v[231:232], v[231:232], v[229:230]
	v_fma_f64 v[229:230], v[173:174], s[22:23], -v[185:186]
	v_add_f64_e32 v[235:236], v[181:182], v[167:168]
	v_fma_f64 v[167:168], v[118:119], s[22:23], v[214:215]
	v_fma_f64 v[185:186], v[173:174], s[22:23], v[185:186]
	v_mul_f64_e32 v[118:119], s[16:17], v[118:119]
	v_add_f64_e32 v[229:230], v[229:230], v[247:248]
	v_dual_mov_b32 v248, v21 :: v_dual_mov_b32 v245, v18
	v_add_f64_e32 v[167:168], v[167:168], v[251:252]
	v_dual_mov_b32 v252, v25 :: v_dual_mov_b32 v249, v22
	v_dual_mov_b32 v247, v20 :: v_dual_mov_b32 v246, v19
	;; [unrolled: 1-line block ×3, first 2 shown]
	scratch_load_b64 v[21:22], off, off offset:64 th:TH_LOAD_LU ; 8-byte Folded Reload
	v_add_f64_e32 v[233:234], v[185:186], v[154:155]
	v_fma_f64 v[154:155], v[165:166], s[18:19], v[243:244]
	v_fma_f64 v[165:166], v[183:184], s[2:3], v[4:5]
	v_add_f64_e64 v[118:119], v[118:119], -v[208:209]
	v_mov_b32_e32 v20, v146
	v_mul_f64_e32 v[146:147], s[22:23], v[163:164]
	v_dual_mov_b32 v244, v17 :: v_dual_mov_b32 v241, v14
	v_dual_mov_b32 v242, v15 :: v_dual_mov_b32 v5, v29
	;; [unrolled: 1-line block ×3, first 2 shown]
	v_add_f64_e32 v[152:153], v[152:153], v[167:168]
	v_fma_f64 v[167:168], v[173:174], s[12:13], v[222:223]
	v_mov_b32_e32 v225, v9
	v_dual_mov_b32 v223, v7 :: v_dual_mov_b32 v224, v8
	v_mov_b32_e32 v222, v6
	v_mov_b32_e32 v6, v28
	v_add_f64_e32 v[144:145], v[154:155], v[144:145]
	v_fma_f64 v[154:155], v[161:162], s[20:21], v[2:3]
	v_add_f64_e32 v[118:119], v[118:119], v[210:211]
	v_mov_b32_e32 v2, v1
	v_add_f64_e32 v[146:147], v[171:172], v[146:147]
	s_delay_alu instid0(VALU_DEP_4)
	v_add_f64_e32 v[152:153], v[154:155], v[152:153]
	v_add_f64_e32 v[154:155], v[165:166], v[144:145]
	v_mul_f64_e32 v[144:145], s[20:21], v[150:151]
	v_add_f64_e32 v[110:111], v[110:111], v[118:119]
	v_mul_f64_e32 v[118:119], s[24:25], v[175:176]
	v_add_f64_e32 v[152:153], v[167:168], v[152:153]
	s_delay_alu instid0(VALU_DEP_4) | instskip(NEXT) | instid1(VALU_DEP_4)
	v_add_f64_e32 v[144:145], v[159:160], v[144:145]
	v_add_f64_e32 v[110:111], v[148:149], v[110:111]
	s_delay_alu instid0(VALU_DEP_4) | instskip(NEXT) | instid1(VALU_DEP_3)
	v_add_f64_e32 v[118:119], v[179:180], v[118:119]
	v_add_f64_e32 v[142:143], v[144:145], v[142:143]
	v_mul_f64_e32 v[144:145], s[24:25], v[173:174]
	s_delay_alu instid0(VALU_DEP_2) | instskip(NEXT) | instid1(VALU_DEP_2)
	v_add_f64_e32 v[142:143], v[146:147], v[142:143]
	v_add_f64_e64 v[150:151], v[144:145], -v[177:178]
	s_delay_alu instid0(VALU_DEP_2) | instskip(NEXT) | instid1(VALU_DEP_2)
	v_add_f64_e32 v[144:145], v[118:119], v[142:143]
	v_add_f64_e32 v[142:143], v[150:151], v[110:111]
	s_wait_loadcnt 0x0
	v_add_f64_e32 v[110:111], v[21:22], v[134:135]
	scratch_load_b64 v[21:22], off, off offset:72 th:TH_LOAD_LU ; 8-byte Folded Reload
	v_add_f64_e32 v[110:111], v[110:111], v[130:131]
	s_delay_alu instid0(VALU_DEP_1) | instskip(NEXT) | instid1(VALU_DEP_1)
	v_add_f64_e32 v[110:111], v[110:111], v[140:141]
	v_add_f64_e32 v[110:111], v[110:111], v[116:117]
	s_delay_alu instid0(VALU_DEP_1) | instskip(SKIP_2) | instid1(VALU_DEP_1)
	v_add_f64_e32 v[108:109], v[110:111], v[108:109]
	s_wait_loadcnt 0x0
	v_add_f64_e32 v[118:119], v[21:22], v[132:133]
	v_add_f64_e32 v[118:119], v[118:119], v[128:129]
	s_delay_alu instid0(VALU_DEP_1) | instskip(NEXT) | instid1(VALU_DEP_1)
	v_add_f64_e32 v[118:119], v[118:119], v[138:139]
	v_add_f64_e32 v[96:97], v[118:119], v[96:97]
	s_delay_alu instid0(VALU_DEP_1) | instskip(SKIP_1) | instid1(VALU_DEP_2)
	v_add_f64_e32 v[96:97], v[96:97], v[98:99]
	v_add_f64_e32 v[98:99], v[108:109], v[114:115]
	v_add_f64_e32 v[96:97], v[96:97], v[112:113]
	s_delay_alu instid0(VALU_DEP_2) | instskip(NEXT) | instid1(VALU_DEP_2)
	v_add_f64_e32 v[98:99], v[98:99], v[106:107]
	v_add_f64_e32 v[96:97], v[96:97], v[104:105]
	s_delay_alu instid0(VALU_DEP_2) | instskip(NEXT) | instid1(VALU_DEP_2)
	v_add_f64_e32 v[98:99], v[98:99], v[122:123]
	v_add_f64_e32 v[96:97], v[96:97], v[120:121]
	;; [unrolled: 3-line block ×3, first 2 shown]
	v_mul_u32_u24_e32 v100, 0xb0, v226
	s_delay_alu instid0(VALU_DEP_1) | instskip(NEXT) | instid1(VALU_DEP_1)
	v_or_b32_e32 v100, v100, v255
	v_lshl_add_u32 v100, v100, 4, v205
	ds_store_b128 v100, v[199:202] offset:512
	ds_store_b128 v100, v[229:232] offset:768
	;; [unrolled: 1-line block ×9, first 2 shown]
	ds_store_b128 v100, v[96:99]
	ds_store_b128 v100, v[124:127] offset:2560
.LBB0_5:
	s_or_b32 exec_lo, exec_lo, s33
	v_lshlrev_b32_e32 v108, 6, v16
	global_wb scope:SCOPE_SE
	s_wait_storecnt_dscnt 0x0
	s_barrier_signal -1
	s_barrier_wait -1
	global_inv scope:SCOPE_SE
	s_clause 0x1
	global_load_b128 v[92:95], v108, s[10:11] offset:2784
	global_load_b128 v[96:99], v108, s[10:11] offset:2800
	ds_load_b128 v[100:103], v204 offset:2816
	ds_load_b128 v[128:131], v204 offset:4224
	v_lshlrev_b32_e32 v142, 6, v228
	s_mov_b32 s12, 0x134454ff
	s_mov_b32 s13, 0x3fee6f0e
	;; [unrolled: 1-line block ×3, first 2 shown]
	s_wait_alu 0xfffe
	s_mov_b32 s14, s12
	s_mov_b32 s2, 0x4755a5e
	;; [unrolled: 1-line block ×5, first 2 shown]
	s_wait_loadcnt_dscnt 0x101
	v_mul_f64_e32 v[104:105], v[102:103], v[94:95]
	s_delay_alu instid0(VALU_DEP_1) | instskip(SKIP_1) | instid1(VALU_DEP_1)
	v_fma_f64 v[146:147], v[100:101], v[92:93], -v[104:105]
	v_mul_f64_e32 v[100:101], v[100:101], v[94:95]
	v_fma_f64 v[148:149], v[102:103], v[92:93], v[100:101]
	ds_load_b128 v[100:103], v204 offset:5632
	ds_load_b128 v[116:119], v204 offset:7040
	s_wait_loadcnt_dscnt 0x1
	v_mul_f64_e32 v[104:105], v[102:103], v[98:99]
	s_delay_alu instid0(VALU_DEP_1) | instskip(SKIP_1) | instid1(VALU_DEP_1)
	v_fma_f64 v[150:151], v[100:101], v[96:97], -v[104:105]
	v_mul_f64_e32 v[100:101], v[100:101], v[98:99]
	v_fma_f64 v[152:153], v[102:103], v[96:97], v[100:101]
	s_clause 0x1
	global_load_b128 v[104:107], v108, s[10:11] offset:2816
	global_load_b128 v[100:103], v108, s[10:11] offset:2832
	ds_load_b128 v[108:111], v204 offset:8448
	ds_load_b128 v[132:135], v204 offset:9856
	s_wait_loadcnt_dscnt 0x101
	v_mul_f64_e32 v[112:113], v[110:111], v[106:107]
	s_delay_alu instid0(VALU_DEP_1) | instskip(SKIP_1) | instid1(VALU_DEP_2)
	v_fma_f64 v[154:155], v[108:109], v[104:105], -v[112:113]
	v_mul_f64_e32 v[108:109], v[108:109], v[106:107]
	v_add_f64_e64 v[190:191], v[150:151], -v[154:155]
	s_delay_alu instid0(VALU_DEP_2)
	v_fma_f64 v[157:158], v[110:111], v[104:105], v[108:109]
	ds_load_b128 v[108:111], v204 offset:11264
	ds_load_b128 v[138:141], v204 offset:12672
	s_wait_loadcnt_dscnt 0x1
	v_mul_f64_e32 v[112:113], v[110:111], v[102:103]
	v_add_f64_e64 v[186:187], v[152:153], -v[157:158]
	s_delay_alu instid0(VALU_DEP_2) | instskip(SKIP_1) | instid1(VALU_DEP_2)
	v_fma_f64 v[159:160], v[108:109], v[100:101], -v[112:113]
	v_mul_f64_e32 v[108:109], v[108:109], v[102:103]
	v_add_f64_e64 v[188:189], v[146:147], -v[159:160]
	s_delay_alu instid0(VALU_DEP_2)
	v_fma_f64 v[161:162], v[110:111], v[100:101], v[108:109]
	s_clause 0x1
	global_load_b128 v[112:115], v142, s[10:11] offset:2800
	global_load_b128 v[108:111], v142, s[10:11] offset:2784
	v_add_f64_e64 v[184:185], v[148:149], -v[161:162]
	s_wait_loadcnt 0x1
	v_mul_f64_e32 v[120:121], v[118:119], v[114:115]
	s_delay_alu instid0(VALU_DEP_1) | instskip(SKIP_1) | instid1(VALU_DEP_1)
	v_fma_f64 v[168:169], v[116:117], v[112:113], -v[120:121]
	v_mul_f64_e32 v[116:117], v[116:117], v[114:115]
	v_fma_f64 v[170:171], v[118:119], v[112:113], v[116:117]
	s_clause 0x1
	global_load_b128 v[120:123], v142, s[10:11] offset:2816
	global_load_b128 v[116:119], v142, s[10:11] offset:2832
	s_mov_b32 s11, 0xbfe2cf23
	s_wait_alu 0xfffe
	s_mov_b32 s10, s2
	s_wait_loadcnt 0x1
	v_mul_f64_e32 v[142:143], v[134:135], v[122:123]
	s_delay_alu instid0(VALU_DEP_1) | instskip(SKIP_1) | instid1(VALU_DEP_1)
	v_fma_f64 v[172:173], v[132:133], v[120:121], -v[142:143]
	v_mul_f64_e32 v[132:133], v[132:133], v[122:123]
	v_fma_f64 v[174:175], v[134:135], v[120:121], v[132:133]
	v_mul_f64_e32 v[132:133], v[130:131], v[110:111]
	s_delay_alu instid0(VALU_DEP_1) | instskip(SKIP_1) | instid1(VALU_DEP_1)
	v_fma_f64 v[176:177], v[128:129], v[108:109], -v[132:133]
	v_mul_f64_e32 v[128:129], v[128:129], v[110:111]
	v_fma_f64 v[178:179], v[130:131], v[108:109], v[128:129]
	s_wait_loadcnt_dscnt 0x0
	v_mul_f64_e32 v[128:129], v[140:141], v[118:119]
	v_add_f64_e64 v[130:131], v[159:160], -v[154:155]
	s_delay_alu instid0(VALU_DEP_2) | instskip(SKIP_2) | instid1(VALU_DEP_2)
	v_fma_f64 v[180:181], v[138:139], v[116:117], -v[128:129]
	v_mul_f64_e32 v[128:129], v[138:139], v[118:119]
	v_add_f64_e32 v[138:139], v[150:151], v[154:155]
	v_fma_f64 v[182:183], v[140:141], v[116:117], v[128:129]
	v_add_f64_e64 v[128:129], v[146:147], -v[150:151]
	s_delay_alu instid0(VALU_DEP_1) | instskip(SKIP_2) | instid1(VALU_DEP_1)
	v_add_f64_e32 v[142:143], v[128:129], v[130:131]
	v_add_f64_e64 v[128:129], v[148:149], -v[152:153]
	v_add_f64_e64 v[130:131], v[161:162], -v[157:158]
	v_add_f64_e32 v[144:145], v[128:129], v[130:131]
	ds_load_b128 v[128:131], v204
	ds_load_b128 v[132:135], v204 offset:1408
	s_wait_dscnt 0x1
	v_fma_f64 v[163:164], v[138:139], -0.5, v[128:129]
	v_add_f64_e32 v[138:139], v[152:153], v[157:158]
	s_delay_alu instid0(VALU_DEP_1) | instskip(NEXT) | instid1(VALU_DEP_3)
	v_fma_f64 v[165:166], v[138:139], -0.5, v[130:131]
	v_fma_f64 v[138:139], v[184:185], s[12:13], v[163:164]
	v_fma_f64 v[163:164], v[184:185], s[14:15], v[163:164]
	s_delay_alu instid0(VALU_DEP_3) | instskip(SKIP_1) | instid1(VALU_DEP_4)
	v_fma_f64 v[140:141], v[188:189], s[14:15], v[165:166]
	v_fma_f64 v[165:166], v[188:189], s[12:13], v[165:166]
	;; [unrolled: 1-line block ×3, first 2 shown]
	s_wait_alu 0xfffe
	s_delay_alu instid0(VALU_DEP_4) | instskip(NEXT) | instid1(VALU_DEP_4)
	v_fma_f64 v[163:164], v[186:187], s[10:11], v[163:164]
	v_fma_f64 v[140:141], v[190:191], s[10:11], v[140:141]
	s_delay_alu instid0(VALU_DEP_4) | instskip(NEXT) | instid1(VALU_DEP_4)
	v_fma_f64 v[165:166], v[190:191], s[2:3], v[165:166]
	v_fma_f64 v[138:139], v[142:143], s[16:17], v[138:139]
	s_delay_alu instid0(VALU_DEP_4) | instskip(SKIP_4) | instid1(VALU_DEP_4)
	v_fma_f64 v[142:143], v[142:143], s[16:17], v[163:164]
	v_add_f64_e32 v[163:164], v[146:147], v[159:160]
	v_fma_f64 v[140:141], v[144:145], s[16:17], v[140:141]
	v_fma_f64 v[144:145], v[144:145], s[16:17], v[165:166]
	v_add_f64_e32 v[165:166], v[148:149], v[161:162]
	v_fma_f64 v[163:164], v[163:164], -0.5, v[128:129]
	v_add_f64_e32 v[128:129], v[128:129], v[146:147]
	v_add_f64_e64 v[146:147], v[150:151], -v[146:147]
	s_delay_alu instid0(VALU_DEP_4) | instskip(SKIP_4) | instid1(VALU_DEP_4)
	v_fma_f64 v[165:166], v[165:166], -0.5, v[130:131]
	v_add_f64_e32 v[130:131], v[130:131], v[148:149]
	v_add_f64_e64 v[148:149], v[152:153], -v[148:149]
	v_add_f64_e32 v[128:129], v[128:129], v[150:151]
	v_add_f64_e64 v[150:151], v[154:155], -v[159:160]
	;; [unrolled: 2-line block ×3, first 2 shown]
	s_delay_alu instid0(VALU_DEP_4)
	v_add_f64_e32 v[128:129], v[128:129], v[154:155]
	v_fma_f64 v[154:155], v[186:187], s[14:15], v[163:164]
	v_add_f64_e32 v[150:151], v[146:147], v[150:151]
	v_add_f64_e32 v[130:131], v[130:131], v[157:158]
	v_fma_f64 v[157:158], v[186:187], s[12:13], v[163:164]
	v_add_f64_e32 v[128:129], v[128:129], v[159:160]
	v_fma_f64 v[159:160], v[190:191], s[12:13], v[165:166]
	;; [unrolled: 2-line block ×3, first 2 shown]
	v_add_f64_e64 v[186:187], v[178:179], -v[182:183]
	v_add_f64_e32 v[130:131], v[130:131], v[161:162]
	v_fma_f64 v[161:162], v[190:191], s[14:15], v[165:166]
	v_fma_f64 v[154:155], v[184:185], s[10:11], v[157:158]
	;; [unrolled: 1-line block ×3, first 2 shown]
	v_add_f64_e64 v[159:160], v[174:175], -v[182:183]
	v_fma_f64 v[146:147], v[150:151], s[16:17], v[146:147]
	v_add_f64_e64 v[184:185], v[170:171], -v[174:175]
	v_add_f64_e64 v[190:191], v[176:177], -v[180:181]
	v_fma_f64 v[157:158], v[188:189], s[2:3], v[161:162]
	v_fma_f64 v[150:151], v[150:151], s[16:17], v[154:155]
	;; [unrolled: 1-line block ×3, first 2 shown]
	v_add_f64_e64 v[154:155], v[168:169], -v[176:177]
	v_add_f64_e64 v[188:189], v[168:169], -v[172:173]
	ds_store_b128 v204, v[138:141] offset:2816
	ds_store_b128 v204, v[146:149] offset:5632
	v_fma_f64 v[152:153], v[152:153], s[16:17], v[157:158]
	v_add_f64_e64 v[157:158], v[172:173], -v[180:181]
	s_delay_alu instid0(VALU_DEP_1) | instskip(SKIP_1) | instid1(VALU_DEP_1)
	v_add_f64_e32 v[154:155], v[154:155], v[157:158]
	v_add_f64_e64 v[157:158], v[170:171], -v[178:179]
	v_add_f64_e32 v[157:158], v[157:158], v[159:160]
	v_add_f64_e32 v[159:160], v[176:177], v[180:181]
	s_wait_dscnt 0x2
	s_delay_alu instid0(VALU_DEP_1) | instskip(SKIP_1) | instid1(VALU_DEP_1)
	v_fma_f64 v[164:165], v[159:160], -0.5, v[132:133]
	v_add_f64_e32 v[159:160], v[178:179], v[182:183]
	v_fma_f64 v[166:167], v[159:160], -0.5, v[134:135]
	s_delay_alu instid0(VALU_DEP_3) | instskip(SKIP_1) | instid1(VALU_DEP_3)
	v_fma_f64 v[159:160], v[184:185], s[14:15], v[164:165]
	v_fma_f64 v[164:165], v[184:185], s[12:13], v[164:165]
	;; [unrolled: 1-line block ×4, first 2 shown]
	s_delay_alu instid0(VALU_DEP_4) | instskip(NEXT) | instid1(VALU_DEP_4)
	v_fma_f64 v[159:160], v[186:187], s[2:3], v[159:160]
	v_fma_f64 v[164:165], v[186:187], s[10:11], v[164:165]
	s_delay_alu instid0(VALU_DEP_4) | instskip(NEXT) | instid1(VALU_DEP_4)
	v_fma_f64 v[162:163], v[190:191], s[10:11], v[161:162]
	v_fma_f64 v[166:167], v[190:191], s[2:3], v[166:167]
	;; [unrolled: 3-line block ×3, first 2 shown]
	v_add_f64_e32 v[154:155], v[168:169], v[172:173]
	v_lshl_add_u32 v159, v16, 4, v205
	v_fma_f64 v[162:163], v[157:158], s[16:17], v[162:163]
	v_fma_f64 v[166:167], v[157:158], s[16:17], v[166:167]
	v_add_f64_e32 v[157:158], v[170:171], v[174:175]
	v_fma_f64 v[154:155], v[154:155], -0.5, v[132:133]
	v_add_f64_e32 v[132:133], v[132:133], v[176:177]
	v_add_f64_e64 v[176:177], v[176:177], -v[168:169]
	s_delay_alu instid0(VALU_DEP_4) | instskip(SKIP_1) | instid1(VALU_DEP_4)
	v_fma_f64 v[157:158], v[157:158], -0.5, v[134:135]
	v_add_f64_e32 v[134:135], v[134:135], v[178:179]
	v_add_f64_e32 v[132:133], v[132:133], v[168:169]
	v_add_f64_e64 v[168:169], v[178:179], -v[170:171]
	s_delay_alu instid0(VALU_DEP_4) | instskip(NEXT) | instid1(VALU_DEP_4)
	v_fma_f64 v[178:179], v[190:191], s[14:15], v[157:158]
	v_add_f64_e32 v[134:135], v[134:135], v[170:171]
	v_add_f64_e64 v[170:171], v[180:181], -v[172:173]
	v_add_f64_e32 v[132:133], v[132:133], v[172:173]
	v_add_f64_e64 v[172:173], v[182:183], -v[174:175]
	v_fma_f64 v[157:158], v[190:191], s[12:13], v[157:158]
	v_add_f64_e32 v[134:135], v[134:135], v[174:175]
	v_fma_f64 v[174:175], v[186:187], s[12:13], v[154:155]
	v_fma_f64 v[154:155], v[186:187], s[14:15], v[154:155]
	v_add_f64_e32 v[132:133], v[132:133], v[180:181]
	v_add_f64_e32 v[176:177], v[176:177], v[170:171]
	;; [unrolled: 1-line block ×3, first 2 shown]
	v_fma_f64 v[170:171], v[188:189], s[10:11], v[178:179]
	v_fma_f64 v[157:158], v[188:189], s[2:3], v[157:158]
	v_lshlrev_b32_e32 v188, 4, v16
	v_add_f64_e32 v[134:135], v[134:135], v[182:183]
	v_fma_f64 v[168:169], v[184:185], s[2:3], v[174:175]
	v_fma_f64 v[154:155], v[184:185], s[10:11], v[154:155]
	s_add_nc_u64 s[2:3], s[8:9], 0x3700
	v_fma_f64 v[170:171], v[180:181], s[16:17], v[170:171]
	v_fma_f64 v[174:175], v[180:181], s[16:17], v[157:158]
	s_delay_alu instid0(VALU_DEP_4) | instskip(NEXT) | instid1(VALU_DEP_4)
	v_fma_f64 v[168:169], v[176:177], s[16:17], v[168:169]
	v_fma_f64 v[172:173], v[176:177], s[16:17], v[154:155]
	ds_store_b128 v159, v[150:153] offset:8448
	ds_store_b128 v159, v[142:145] offset:11264
	ds_store_b128 v204, v[128:131]
	ds_store_b128 v204, v[132:135] offset:1408
	ds_store_b128 v204, v[168:171] offset:4224
	;; [unrolled: 1-line block ×5, first 2 shown]
	global_wb scope:SCOPE_SE
	s_wait_dscnt 0x0
	s_barrier_signal -1
	s_barrier_wait -1
	global_inv scope:SCOPE_SE
	global_load_b128 v[128:131], v[136:137], off offset:14080
	ds_load_b128 v[132:135], v204
	ds_load_b128 v[136:139], v204 offset:1408
	ds_load_b128 v[144:147], v204 offset:7040
	;; [unrolled: 1-line block ×3, first 2 shown]
	global_load_b128 v[148:151], v188, s[2:3] offset:8448
	s_wait_loadcnt_dscnt 0x103
	v_mul_f64_e32 v[140:141], v[134:135], v[130:131]
	v_mul_f64_e32 v[142:143], v[132:133], v[130:131]
	s_delay_alu instid0(VALU_DEP_2) | instskip(NEXT) | instid1(VALU_DEP_2)
	v_fma_f64 v[130:131], v[132:133], v[128:129], -v[140:141]
	v_fma_f64 v[132:133], v[134:135], v[128:129], v[142:143]
	s_clause 0x2
	global_load_b128 v[140:143], v188, s[2:3] offset:7040
	global_load_b128 v[160:163], v188, s[2:3] offset:1408
	;; [unrolled: 1-line block ×3, first 2 shown]
	s_wait_loadcnt_dscnt 0x201
	v_mul_f64_e32 v[128:129], v[146:147], v[142:143]
	v_mul_f64_e32 v[134:135], v[144:145], v[142:143]
	s_delay_alu instid0(VALU_DEP_2) | instskip(NEXT) | instid1(VALU_DEP_2)
	v_fma_f64 v[142:143], v[144:145], v[140:141], -v[128:129]
	v_fma_f64 v[144:145], v[146:147], v[140:141], v[134:135]
	s_wait_loadcnt 0x1
	v_mul_f64_e32 v[128:129], v[138:139], v[162:163]
	v_mul_f64_e32 v[140:141], v[136:137], v[162:163]
	s_delay_alu instid0(VALU_DEP_2) | instskip(NEXT) | instid1(VALU_DEP_2)
	v_fma_f64 v[134:135], v[136:137], v[160:161], -v[128:129]
	v_fma_f64 v[136:137], v[138:139], v[160:161], v[140:141]
	ds_load_b128 v[138:141], v204 offset:8448
	ds_load_b128 v[160:163], v204 offset:9856
	s_wait_dscnt 0x1
	v_mul_f64_e32 v[128:129], v[140:141], v[150:151]
	v_mul_f64_e32 v[146:147], v[138:139], v[150:151]
	s_delay_alu instid0(VALU_DEP_2) | instskip(NEXT) | instid1(VALU_DEP_2)
	v_fma_f64 v[138:139], v[138:139], v[148:149], -v[128:129]
	v_fma_f64 v[140:141], v[140:141], v[148:149], v[146:147]
	ds_load_b128 v[146:149], v204 offset:2816
	ds_load_b128 v[168:171], v204 offset:4224
	s_wait_loadcnt_dscnt 0x1
	v_mul_f64_e32 v[128:129], v[148:149], v[166:167]
	v_mul_f64_e32 v[150:151], v[146:147], v[166:167]
	s_delay_alu instid0(VALU_DEP_2) | instskip(NEXT) | instid1(VALU_DEP_2)
	v_fma_f64 v[146:147], v[146:147], v[164:165], -v[128:129]
	v_fma_f64 v[148:149], v[148:149], v[164:165], v[150:151]
	s_clause 0x1
	global_load_b128 v[164:167], v188, s[2:3] offset:9856
	global_load_b128 v[172:175], v188, s[2:3] offset:11264
	s_wait_loadcnt 0x1
	v_mul_f64_e32 v[128:129], v[162:163], v[166:167]
	v_mul_f64_e32 v[150:151], v[160:161], v[166:167]
	s_delay_alu instid0(VALU_DEP_2) | instskip(NEXT) | instid1(VALU_DEP_2)
	v_fma_f64 v[160:161], v[160:161], v[164:165], -v[128:129]
	v_fma_f64 v[162:163], v[162:163], v[164:165], v[150:151]
	s_clause 0x1
	global_load_b128 v[164:167], v188, s[2:3] offset:4224
	global_load_b128 v[176:179], v188, s[2:3] offset:5632
	ds_load_b128 v[180:183], v204 offset:11264
	ds_load_b128 v[184:187], v204 offset:12672
	s_wait_loadcnt_dscnt 0x102
	v_mul_f64_e32 v[128:129], v[170:171], v[166:167]
	v_mul_f64_e32 v[150:151], v[168:169], v[166:167]
	s_wait_loadcnt 0x0
	v_mul_f64_e32 v[157:158], v[152:153], v[178:179]
	s_delay_alu instid0(VALU_DEP_3) | instskip(SKIP_2) | instid1(VALU_DEP_4)
	v_fma_f64 v[166:167], v[168:169], v[164:165], -v[128:129]
	s_wait_dscnt 0x1
	v_mul_f64_e32 v[128:129], v[182:183], v[174:175]
	v_fma_f64 v[168:169], v[170:171], v[164:165], v[150:151]
	v_mul_f64_e32 v[150:151], v[180:181], v[174:175]
	s_delay_alu instid0(VALU_DEP_3) | instskip(SKIP_1) | instid1(VALU_DEP_3)
	v_fma_f64 v[170:171], v[180:181], v[172:173], -v[128:129]
	v_mul_f64_e32 v[128:129], v[154:155], v[178:179]
	v_fma_f64 v[172:173], v[182:183], v[172:173], v[150:151]
	s_delay_alu instid0(VALU_DEP_2)
	v_fma_f64 v[150:151], v[152:153], v[176:177], -v[128:129]
	v_fma_f64 v[152:153], v[154:155], v[176:177], v[157:158]
	global_load_b128 v[174:177], v188, s[2:3] offset:12672
	s_wait_loadcnt_dscnt 0x0
	v_mul_f64_e32 v[128:129], v[186:187], v[176:177]
	v_mul_f64_e32 v[154:155], v[184:185], v[176:177]
	s_delay_alu instid0(VALU_DEP_2) | instskip(NEXT) | instid1(VALU_DEP_2)
	v_fma_f64 v[176:177], v[184:185], v[174:175], -v[128:129]
	v_fma_f64 v[178:179], v[186:187], v[174:175], v[154:155]
	ds_store_b128 v204, v[130:133]
	ds_store_b128 v204, v[134:137] offset:1408
	ds_store_b128 v204, v[138:141] offset:8448
	;; [unrolled: 1-line block ×9, first 2 shown]
	global_wb scope:SCOPE_SE
	s_wait_dscnt 0x0
	s_barrier_signal -1
	s_barrier_wait -1
	global_inv scope:SCOPE_SE
	ds_load_b128 v[128:131], v204 offset:7040
	ds_load_b128 v[132:135], v204
	ds_load_b128 v[136:139], v204 offset:1408
	ds_load_b128 v[140:143], v204 offset:5632
	;; [unrolled: 1-line block ×8, first 2 shown]
	global_wb scope:SCOPE_SE
	s_wait_dscnt 0x0
	s_barrier_signal -1
	s_barrier_wait -1
	global_inv scope:SCOPE_SE
	v_add_f64_e64 v[128:129], v[132:133], -v[128:129]
	v_add_f64_e64 v[130:131], v[134:135], -v[130:131]
	s_delay_alu instid0(VALU_DEP_2) | instskip(NEXT) | instid1(VALU_DEP_2)
	v_fma_f64 v[132:133], v[132:133], 2.0, -v[128:129]
	v_fma_f64 v[134:135], v[134:135], 2.0, -v[130:131]
	ds_store_b128 v2, v[128:131] offset:16
	ds_store_b128 v2, v[132:135]
	v_add_f64_e64 v[128:129], v[136:137], -v[144:145]
	v_add_f64_e64 v[130:131], v[138:139], -v[146:147]
	s_delay_alu instid0(VALU_DEP_2) | instskip(NEXT) | instid1(VALU_DEP_2)
	v_fma_f64 v[132:133], v[136:137], 2.0, -v[128:129]
	v_fma_f64 v[134:135], v[138:139], 2.0, -v[130:131]
	ds_store_b128 v20, v[132:135]
	ds_store_b128 v20, v[128:131] offset:16
	v_add_f64_e64 v[128:129], v[152:153], -v[148:149]
	v_add_f64_e64 v[130:131], v[154:155], -v[150:151]
	s_delay_alu instid0(VALU_DEP_2) | instskip(NEXT) | instid1(VALU_DEP_2)
	v_fma_f64 v[132:133], v[152:153], 2.0, -v[128:129]
	v_fma_f64 v[134:135], v[154:155], 2.0, -v[130:131]
	ds_store_b128 v39, v[132:135]
	ds_store_b128 v39, v[128:131] offset:16
	v_add_f64_e64 v[128:129], v[160:161], -v[164:165]
	v_add_f64_e64 v[130:131], v[162:163], -v[166:167]
	s_delay_alu instid0(VALU_DEP_2) | instskip(NEXT) | instid1(VALU_DEP_2)
	v_fma_f64 v[132:133], v[160:161], 2.0, -v[128:129]
	v_fma_f64 v[134:135], v[162:163], 2.0, -v[130:131]
	ds_store_b128 v36, v[132:135]
	ds_store_b128 v36, v[128:131] offset:16
	v_add_f64_e64 v[128:129], v[140:141], -v[168:169]
	v_add_f64_e64 v[130:131], v[142:143], -v[170:171]
	s_delay_alu instid0(VALU_DEP_2) | instskip(NEXT) | instid1(VALU_DEP_2)
	v_fma_f64 v[132:133], v[140:141], 2.0, -v[128:129]
	v_fma_f64 v[134:135], v[142:143], 2.0, -v[130:131]
	ds_store_b128 v5, v[132:135]
	ds_store_b128 v5, v[128:131] offset:16
	global_wb scope:SCOPE_SE
	s_wait_dscnt 0x0
	s_barrier_signal -1
	s_barrier_wait -1
	global_inv scope:SCOPE_SE
	ds_load_b128 v[128:131], v204 offset:7040
	ds_load_b128 v[132:135], v204 offset:5632
	s_wait_dscnt 0x1
	v_mul_f64_e32 v[136:137], v[54:55], v[130:131]
	s_delay_alu instid0(VALU_DEP_1) | instskip(SKIP_1) | instid1(VALU_DEP_1)
	v_fma_f64 v[140:141], v[52:53], v[128:129], v[136:137]
	v_mul_f64_e32 v[128:129], v[54:55], v[128:129]
	v_fma_f64 v[142:143], v[52:53], v[130:131], -v[128:129]
	ds_load_b128 v[128:131], v204 offset:8448
	ds_load_b128 v[136:139], v204 offset:9856
	s_wait_dscnt 0x1
	v_mul_f64_e32 v[144:145], v[54:55], v[130:131]
	s_delay_alu instid0(VALU_DEP_1) | instskip(SKIP_1) | instid1(VALU_DEP_1)
	v_fma_f64 v[148:149], v[52:53], v[128:129], v[144:145]
	v_mul_f64_e32 v[128:129], v[54:55], v[128:129]
	v_fma_f64 v[150:151], v[52:53], v[130:131], -v[128:129]
	s_wait_dscnt 0x0
	v_mul_f64_e32 v[128:129], v[54:55], v[138:139]
	s_delay_alu instid0(VALU_DEP_1) | instskip(SKIP_1) | instid1(VALU_DEP_1)
	v_fma_f64 v[152:153], v[52:53], v[136:137], v[128:129]
	v_mul_f64_e32 v[128:129], v[54:55], v[136:137]
	v_fma_f64 v[154:155], v[52:53], v[138:139], -v[128:129]
	ds_load_b128 v[128:131], v204 offset:11264
	ds_load_b128 v[136:139], v204 offset:12672
	s_wait_dscnt 0x1
	v_mul_f64_e32 v[144:145], v[54:55], v[130:131]
	s_delay_alu instid0(VALU_DEP_1) | instskip(SKIP_1) | instid1(VALU_DEP_1)
	v_fma_f64 v[157:158], v[52:53], v[128:129], v[144:145]
	v_mul_f64_e32 v[128:129], v[54:55], v[128:129]
	v_fma_f64 v[160:161], v[52:53], v[130:131], -v[128:129]
	s_wait_dscnt 0x0
	v_mul_f64_e32 v[128:129], v[54:55], v[138:139]
	v_mul_f64_e32 v[54:55], v[54:55], v[136:137]
	s_delay_alu instid0(VALU_DEP_2) | instskip(NEXT) | instid1(VALU_DEP_2)
	v_fma_f64 v[162:163], v[52:53], v[136:137], v[128:129]
	v_fma_f64 v[164:165], v[52:53], v[138:139], -v[54:55]
	ds_load_b128 v[52:55], v204
	ds_load_b128 v[128:131], v204 offset:1408
	s_wait_dscnt 0x1
	v_add_f64_e64 v[136:137], v[52:53], -v[140:141]
	v_add_f64_e64 v[138:139], v[54:55], -v[142:143]
	ds_load_b128 v[140:143], v204 offset:2816
	ds_load_b128 v[144:147], v204 offset:4224
	global_wb scope:SCOPE_SE
	s_wait_dscnt 0x0
	s_barrier_signal -1
	s_barrier_wait -1
	global_inv scope:SCOPE_SE
	v_fma_f64 v[52:53], v[52:53], 2.0, -v[136:137]
	v_fma_f64 v[54:55], v[54:55], 2.0, -v[138:139]
	ds_store_b128 v27, v[136:139] offset:32
	ds_store_b128 v27, v[52:55]
	v_add_f64_e64 v[52:53], v[128:129], -v[148:149]
	v_add_f64_e64 v[54:55], v[130:131], -v[150:151]
	s_delay_alu instid0(VALU_DEP_2) | instskip(NEXT) | instid1(VALU_DEP_2)
	v_fma_f64 v[128:129], v[128:129], 2.0, -v[52:53]
	v_fma_f64 v[130:131], v[130:131], 2.0, -v[54:55]
	ds_store_b128 v26, v[128:131]
	ds_store_b128 v26, v[52:55] offset:32
	v_add_f64_e64 v[52:53], v[140:141], -v[152:153]
	v_add_f64_e64 v[54:55], v[142:143], -v[154:155]
	s_delay_alu instid0(VALU_DEP_2) | instskip(NEXT) | instid1(VALU_DEP_2)
	v_fma_f64 v[128:129], v[140:141], 2.0, -v[52:53]
	v_fma_f64 v[130:131], v[142:143], 2.0, -v[54:55]
	ds_store_b128 v33, v[128:131]
	ds_store_b128 v33, v[52:55] offset:32
	;; [unrolled: 7-line block ×4, first 2 shown]
	global_wb scope:SCOPE_SE
	s_wait_dscnt 0x0
	s_barrier_signal -1
	s_barrier_wait -1
	global_inv scope:SCOPE_SE
	ds_load_b128 v[52:55], v204 offset:7040
	ds_load_b128 v[128:131], v204 offset:5632
	s_wait_dscnt 0x1
	v_mul_f64_e32 v[132:133], v[50:51], v[54:55]
	s_delay_alu instid0(VALU_DEP_1) | instskip(SKIP_1) | instid1(VALU_DEP_1)
	v_fma_f64 v[136:137], v[48:49], v[52:53], v[132:133]
	v_mul_f64_e32 v[52:53], v[50:51], v[52:53]
	v_fma_f64 v[138:139], v[48:49], v[54:55], -v[52:53]
	ds_load_b128 v[52:55], v204 offset:8448
	ds_load_b128 v[132:135], v204 offset:9856
	s_wait_dscnt 0x1
	v_mul_f64_e32 v[140:141], v[50:51], v[54:55]
	s_delay_alu instid0(VALU_DEP_1) | instskip(SKIP_1) | instid1(VALU_DEP_1)
	v_fma_f64 v[144:145], v[48:49], v[52:53], v[140:141]
	v_mul_f64_e32 v[52:53], v[50:51], v[52:53]
	v_fma_f64 v[146:147], v[48:49], v[54:55], -v[52:53]
	s_wait_dscnt 0x0
	v_mul_f64_e32 v[52:53], v[50:51], v[134:135]
	s_delay_alu instid0(VALU_DEP_1) | instskip(SKIP_1) | instid1(VALU_DEP_1)
	v_fma_f64 v[148:149], v[48:49], v[132:133], v[52:53]
	v_mul_f64_e32 v[52:53], v[50:51], v[132:133]
	v_fma_f64 v[150:151], v[48:49], v[134:135], -v[52:53]
	ds_load_b128 v[52:55], v204 offset:11264
	ds_load_b128 v[132:135], v204 offset:12672
	s_wait_dscnt 0x1
	v_mul_f64_e32 v[140:141], v[50:51], v[54:55]
	s_delay_alu instid0(VALU_DEP_1) | instskip(SKIP_1) | instid1(VALU_DEP_1)
	v_fma_f64 v[152:153], v[48:49], v[52:53], v[140:141]
	v_mul_f64_e32 v[52:53], v[50:51], v[52:53]
	v_fma_f64 v[154:155], v[48:49], v[54:55], -v[52:53]
	s_wait_dscnt 0x0
	v_mul_f64_e32 v[52:53], v[50:51], v[134:135]
	v_mul_f64_e32 v[50:51], v[50:51], v[132:133]
	s_delay_alu instid0(VALU_DEP_2) | instskip(NEXT) | instid1(VALU_DEP_2)
	v_fma_f64 v[157:158], v[48:49], v[132:133], v[52:53]
	v_fma_f64 v[160:161], v[48:49], v[134:135], -v[50:51]
	ds_load_b128 v[48:51], v204
	ds_load_b128 v[52:55], v204 offset:1408
	s_wait_dscnt 0x1
	v_add_f64_e64 v[132:133], v[48:49], -v[136:137]
	v_add_f64_e64 v[134:135], v[50:51], -v[138:139]
	ds_load_b128 v[136:139], v204 offset:2816
	ds_load_b128 v[140:143], v204 offset:4224
	global_wb scope:SCOPE_SE
	s_wait_dscnt 0x0
	s_barrier_signal -1
	s_barrier_wait -1
	global_inv scope:SCOPE_SE
	v_fma_f64 v[48:49], v[48:49], 2.0, -v[132:133]
	v_fma_f64 v[50:51], v[50:51], 2.0, -v[134:135]
	ds_store_b128 v37, v[132:135] offset:64
	ds_store_b128 v37, v[48:51]
	v_add_f64_e64 v[48:49], v[52:53], -v[144:145]
	v_add_f64_e64 v[50:51], v[54:55], -v[146:147]
	s_delay_alu instid0(VALU_DEP_2) | instskip(NEXT) | instid1(VALU_DEP_2)
	v_fma_f64 v[52:53], v[52:53], 2.0, -v[48:49]
	v_fma_f64 v[54:55], v[54:55], 2.0, -v[50:51]
	ds_store_b128 v38, v[52:55]
	ds_store_b128 v38, v[48:51] offset:64
	v_add_f64_e64 v[48:49], v[136:137], -v[148:149]
	v_add_f64_e64 v[50:51], v[138:139], -v[150:151]
	s_delay_alu instid0(VALU_DEP_2) | instskip(NEXT) | instid1(VALU_DEP_2)
	v_fma_f64 v[52:53], v[136:137], 2.0, -v[48:49]
	v_fma_f64 v[54:55], v[138:139], 2.0, -v[50:51]
	ds_store_b128 v35, v[52:55]
	ds_store_b128 v35, v[48:51] offset:64
	;; [unrolled: 7-line block ×4, first 2 shown]
	global_wb scope:SCOPE_SE
	s_wait_dscnt 0x0
	s_barrier_signal -1
	s_barrier_wait -1
	global_inv scope:SCOPE_SE
	ds_load_b128 v[48:51], v204 offset:7040
	ds_load_b128 v[152:155], v204 offset:5632
	s_wait_dscnt 0x1
	v_mul_f64_e32 v[52:53], v[42:43], v[50:51]
	s_delay_alu instid0(VALU_DEP_1) | instskip(SKIP_1) | instid1(VALU_DEP_1)
	v_fma_f64 v[128:129], v[40:41], v[48:49], v[52:53]
	v_mul_f64_e32 v[48:49], v[42:43], v[48:49]
	v_fma_f64 v[130:131], v[40:41], v[50:51], -v[48:49]
	ds_load_b128 v[48:51], v204 offset:8448
	ds_load_b128 v[52:55], v204 offset:9856
	s_wait_dscnt 0x1
	v_mul_f64_e32 v[132:133], v[42:43], v[50:51]
	s_delay_alu instid0(VALU_DEP_1) | instskip(SKIP_1) | instid1(VALU_DEP_1)
	v_fma_f64 v[132:133], v[40:41], v[48:49], v[132:133]
	v_mul_f64_e32 v[48:49], v[42:43], v[48:49]
	v_fma_f64 v[134:135], v[40:41], v[50:51], -v[48:49]
	s_wait_dscnt 0x0
	v_mul_f64_e32 v[48:49], v[42:43], v[54:55]
	s_delay_alu instid0(VALU_DEP_1) | instskip(SKIP_1) | instid1(VALU_DEP_1)
	v_fma_f64 v[136:137], v[40:41], v[52:53], v[48:49]
	v_mul_f64_e32 v[48:49], v[42:43], v[52:53]
	v_fma_f64 v[138:139], v[40:41], v[54:55], -v[48:49]
	ds_load_b128 v[48:51], v204 offset:11264
	ds_load_b128 v[52:55], v204 offset:12672
	s_wait_dscnt 0x1
	v_mul_f64_e32 v[140:141], v[42:43], v[50:51]
	s_delay_alu instid0(VALU_DEP_1) | instskip(SKIP_1) | instid1(VALU_DEP_1)
	v_fma_f64 v[140:141], v[40:41], v[48:49], v[140:141]
	v_mul_f64_e32 v[48:49], v[42:43], v[48:49]
	v_fma_f64 v[142:143], v[40:41], v[50:51], -v[48:49]
	s_wait_dscnt 0x0
	v_mul_f64_e32 v[48:49], v[42:43], v[54:55]
	v_mul_f64_e32 v[42:43], v[42:43], v[52:53]
	s_delay_alu instid0(VALU_DEP_2) | instskip(NEXT) | instid1(VALU_DEP_2)
	v_fma_f64 v[148:149], v[40:41], v[52:53], v[48:49]
	v_fma_f64 v[150:151], v[40:41], v[54:55], -v[42:43]
	ds_load_b128 v[40:43], v204
	ds_load_b128 v[48:51], v204 offset:1408
	s_wait_dscnt 0x1
	v_add_f64_e64 v[128:129], v[40:41], -v[128:129]
	s_wait_dscnt 0x0
	v_add_f64_e64 v[52:53], v[48:49], -v[132:133]
	v_add_f64_e64 v[54:55], v[50:51], -v[134:135]
	ds_load_b128 v[132:135], v204 offset:2816
	ds_load_b128 v[144:147], v204 offset:4224
	v_add_f64_e64 v[130:131], v[42:43], -v[130:131]
	global_wb scope:SCOPE_SE
	s_wait_dscnt 0x0
	s_barrier_signal -1
	s_barrier_wait -1
	global_inv scope:SCOPE_SE
	v_add_f64_e64 v[148:149], v[152:153], -v[148:149]
	v_add_f64_e64 v[150:151], v[154:155], -v[150:151]
	;; [unrolled: 1-line block ×6, first 2 shown]
	v_fma_f64 v[40:41], v[40:41], 2.0, -v[128:129]
	v_fma_f64 v[48:49], v[48:49], 2.0, -v[52:53]
	;; [unrolled: 1-line block ×10, first 2 shown]
	ds_store_b128 v156, v[128:131] offset:128
	ds_store_b128 v156, v[40:43]
	ds_store_b128 v0, v[48:51]
	ds_store_b128 v0, v[52:55] offset:128
	ds_store_b128 v227, v[132:135]
	ds_store_b128 v227, v[136:139] offset:128
	;; [unrolled: 2-line block ×4, first 2 shown]
	global_wb scope:SCOPE_SE
	s_wait_dscnt 0x0
	s_barrier_signal -1
	s_barrier_wait -1
	global_inv scope:SCOPE_SE
	s_and_saveexec_b32 s2, vcc_lo
	s_cbranch_execz .LBB0_7
; %bb.6:
	ds_load_b128 v[40:43], v204
	ds_load_b128 v[128:131], v204 offset:1280
	ds_load_b128 v[48:51], v204 offset:2560
	;; [unrolled: 1-line block ×10, first 2 shown]
.LBB0_7:
	s_wait_alu 0xfffe
	s_or_b32 exec_lo, exec_lo, s2
	v_add_nc_u32_e32 v160, 0x580, v204
	global_wb scope:SCOPE_SE
	s_wait_dscnt 0x0
	s_barrier_signal -1
	s_barrier_wait -1
	global_inv scope:SCOPE_SE
	s_and_saveexec_b32 s30, vcc_lo
	s_cbranch_execz .LBB0_9
; %bb.8:
	v_mul_f64_e32 v[157:158], v[46:47], v[128:129]
	v_mul_f64_e32 v[46:47], v[46:47], v[130:131]
	s_mov_b32 s25, 0x3fed1bb4
	s_mov_b32 s24, 0x8eee2c13
	;; [unrolled: 1-line block ×11, first 2 shown]
	s_wait_alu 0xfffe
	s_mov_b32 s26, s16
	s_mov_b32 s2, 0x640f44db
	;; [unrolled: 1-line block ×15, first 2 shown]
	s_delay_alu instid0(VALU_DEP_2) | instskip(NEXT) | instid1(VALU_DEP_2)
	v_fma_f64 v[157:158], v[44:45], v[130:131], -v[157:158]
	v_fma_f64 v[128:129], v[44:45], v[128:129], v[46:47]
	v_mul_f64_e32 v[44:45], v[90:91], v[138:139]
	v_mul_f64_e32 v[46:47], v[90:91], v[136:137]
	s_delay_alu instid0(VALU_DEP_2) | instskip(NEXT) | instid1(VALU_DEP_2)
	v_fma_f64 v[44:45], v[88:89], v[136:137], v[44:45]
	v_fma_f64 v[88:89], v[88:89], v[138:139], -v[46:47]
	v_mul_f64_e32 v[46:47], v[86:87], v[146:147]
	v_mul_f64_e32 v[86:87], v[86:87], v[144:145]
	s_delay_alu instid0(VALU_DEP_2) | instskip(NEXT) | instid1(VALU_DEP_2)
	v_fma_f64 v[46:47], v[84:85], v[144:145], v[46:47]
	v_fma_f64 v[84:85], v[84:85], v[146:147], -v[86:87]
	v_mul_f64_e32 v[86:87], v[82:83], v[134:135]
	v_mul_f64_e32 v[82:83], v[82:83], v[132:133]
	s_delay_alu instid0(VALU_DEP_4) | instskip(NEXT) | instid1(VALU_DEP_4)
	v_add_f64_e32 v[212:213], v[44:45], v[46:47]
	v_add_f64_e64 v[90:91], v[88:89], -v[84:85]
	s_delay_alu instid0(VALU_DEP_4) | instskip(NEXT) | instid1(VALU_DEP_4)
	v_fma_f64 v[86:87], v[80:81], v[132:133], v[86:87]
	v_fma_f64 v[82:83], v[80:81], v[134:135], -v[82:83]
	v_mul_f64_e32 v[80:81], v[78:79], v[142:143]
	v_mul_f64_e32 v[78:79], v[78:79], v[140:141]
	v_add_f64_e32 v[208:209], v[88:89], v[84:85]
	v_mul_f64_e32 v[132:133], s[24:25], v[90:91]
	v_mul_f64_e32 v[214:215], s[20:21], v[90:91]
	v_fma_f64 v[80:81], v[76:77], v[140:141], v[80:81]
	v_fma_f64 v[76:77], v[76:77], v[142:143], -v[78:79]
	v_mul_f64_e32 v[78:79], v[74:75], v[54:55]
	s_delay_alu instid0(VALU_DEP_1) | instskip(SKIP_2) | instid1(VALU_DEP_2)
	v_fma_f64 v[78:79], v[72:73], v[52:53], v[78:79]
	v_mul_f64_e32 v[52:53], v[74:75], v[52:53]
	v_add_f64_e64 v[74:75], v[44:45], -v[46:47]
	v_fma_f64 v[72:73], v[72:73], v[54:55], -v[52:53]
	v_mul_f64_e32 v[52:53], v[70:71], v[154:155]
	v_mul_f64_e32 v[54:55], v[70:71], v[152:153]
	v_add_f64_e64 v[70:71], v[82:83], -v[76:77]
	v_mul_f64_e32 v[130:131], s[24:25], v[74:75]
	v_mul_f64_e32 v[210:211], s[20:21], v[74:75]
	v_fma_f64 v[52:53], v[68:69], v[152:153], v[52:53]
	v_fma_f64 v[54:55], v[68:69], v[154:155], -v[54:55]
	v_mul_f64_e32 v[68:69], v[62:63], v[50:51]
	s_delay_alu instid0(VALU_DEP_3) | instskip(NEXT) | instid1(VALU_DEP_3)
	v_add_f64_e64 v[144:145], v[78:79], -v[52:53]
	v_add_f64_e64 v[146:147], v[72:73], -v[54:55]
	s_delay_alu instid0(VALU_DEP_3)
	v_fma_f64 v[68:69], v[60:61], v[48:49], v[68:69]
	v_mul_f64_e32 v[48:49], v[62:63], v[48:49]
	v_add_f64_e32 v[193:194], v[72:73], v[54:55]
	v_mul_f64_e32 v[136:137], s[24:25], v[144:145]
	v_mul_f64_e32 v[138:139], s[24:25], v[146:147]
	;; [unrolled: 1-line block ×3, first 2 shown]
	v_fma_f64 v[62:63], v[60:61], v[50:51], -v[48:49]
	v_mul_f64_e32 v[50:51], v[66:67], v[148:149]
	v_mul_f64_e32 v[48:49], v[66:67], v[150:151]
	;; [unrolled: 1-line block ×3, first 2 shown]
	s_delay_alu instid0(VALU_DEP_3) | instskip(SKIP_3) | instid1(VALU_DEP_4)
	v_fma_f64 v[60:61], v[64:65], v[150:151], -v[50:51]
	v_mul_f64_e32 v[50:51], v[58:59], v[126:127]
	v_mul_f64_e32 v[58:59], v[58:59], v[124:125]
	v_fma_f64 v[48:49], v[64:65], v[148:149], v[48:49]
	v_add_f64_e32 v[187:188], v[62:63], v[60:61]
	s_delay_alu instid0(VALU_DEP_4) | instskip(NEXT) | instid1(VALU_DEP_4)
	v_fma_f64 v[50:51], v[56:57], v[124:125], v[50:51]
	v_fma_f64 v[56:57], v[56:57], v[126:127], -v[58:59]
	v_add_f64_e64 v[58:59], v[86:87], -v[80:81]
	v_add_f64_e64 v[185:186], v[68:69], -v[48:49]
	v_add_f64_e64 v[189:190], v[62:63], -v[60:61]
	v_add_f64_e32 v[191:192], v[68:69], v[48:49]
	v_add_f64_e64 v[124:125], v[128:129], -v[50:51]
	v_add_f64_e32 v[148:149], v[157:158], v[56:57]
	v_mul_f64_e32 v[64:65], s[24:25], v[58:59]
	s_mov_b32 s25, 0xbfed1bb4
	v_add_f64_e32 v[173:174], v[128:129], v[50:51]
	s_delay_alu instid0(VALU_DEP_4)
	v_mul_f64_e32 v[126:127], s[22:23], v[124:125]
	v_mul_f64_e32 v[134:135], s[18:19], v[124:125]
	;; [unrolled: 1-line block ×3, first 2 shown]
	s_wait_alu 0xfffe
	v_mul_f64_e32 v[142:143], s[26:27], v[124:125]
	v_mul_f64_e32 v[124:125], s[24:25], v[124:125]
	v_fma_f64 v[150:151], v[148:149], s[12:13], v[126:127]
	v_fma_f64 v[126:127], v[148:149], s[12:13], -v[126:127]
	v_fma_f64 v[152:153], v[148:149], s[10:11], v[134:135]
	v_fma_f64 v[134:135], v[148:149], s[10:11], -v[134:135]
	;; [unrolled: 2-line block ×4, first 2 shown]
	v_fma_f64 v[163:164], v[148:149], s[8:9], -v[124:125]
	v_fma_f64 v[124:125], v[148:149], s[8:9], v[124:125]
	v_add_f64_e64 v[148:149], v[157:158], -v[56:57]
	v_add_f64_e32 v[157:158], v[42:43], v[157:158]
	v_add_f64_e32 v[126:127], v[42:43], v[126:127]
	v_add_f64_e32 v[152:153], v[42:43], v[152:153]
	v_add_f64_e32 v[134:135], v[42:43], v[134:135]
	v_add_f64_e32 v[154:155], v[42:43], v[154:155]
	v_add_f64_e32 v[140:141], v[42:43], v[140:141]
	v_add_f64_e32 v[161:162], v[42:43], v[161:162]
	v_add_f64_e32 v[142:143], v[42:43], v[142:143]
	v_add_f64_e32 v[163:164], v[42:43], v[163:164]
	v_mul_f64_e32 v[165:166], s[22:23], v[148:149]
	v_mul_f64_e32 v[167:168], s[18:19], v[148:149]
	;; [unrolled: 1-line block ×5, first 2 shown]
	v_fma_f64 v[175:176], v[173:174], s[12:13], -v[165:166]
	v_fma_f64 v[177:178], v[173:174], s[10:11], -v[167:168]
	;; [unrolled: 1-line block ×3, first 2 shown]
	v_fma_f64 v[181:182], v[173:174], s[14:15], v[171:172]
	v_fma_f64 v[183:184], v[173:174], s[8:9], v[148:149]
	;; [unrolled: 1-line block ×5, first 2 shown]
	v_fma_f64 v[171:172], v[173:174], s[14:15], -v[171:172]
	v_fma_f64 v[148:149], v[173:174], s[8:9], -v[148:149]
	v_add_f64_e32 v[173:174], v[40:41], v[128:129]
	v_add_f64_e32 v[128:129], v[42:43], v[150:151]
	;; [unrolled: 1-line block ×8, first 2 shown]
	v_mul_f64_e32 v[124:125], s[16:17], v[185:186]
	v_add_f64_e32 v[165:166], v[40:41], v[165:166]
	v_add_f64_e32 v[167:168], v[40:41], v[167:168]
	;; [unrolled: 1-line block ×5, first 2 shown]
	v_fma_f64 v[40:41], v[187:188], s[14:15], v[124:125]
	v_fma_f64 v[124:125], v[187:188], s[14:15], -v[124:125]
	s_delay_alu instid0(VALU_DEP_2) | instskip(SKIP_1) | instid1(VALU_DEP_3)
	v_add_f64_e32 v[40:41], v[40:41], v[128:129]
	v_mul_f64_e32 v[128:129], s[16:17], v[189:190]
	v_add_f64_e32 v[124:125], v[124:125], v[126:127]
	s_delay_alu instid0(VALU_DEP_2) | instskip(SKIP_1) | instid1(VALU_DEP_2)
	v_fma_f64 v[42:43], v[191:192], s[14:15], -v[128:129]
	v_fma_f64 v[126:127], v[191:192], s[14:15], v[128:129]
	v_add_f64_e32 v[42:43], v[42:43], v[150:151]
	v_mul_f64_e32 v[150:151], s[18:19], v[144:145]
	s_delay_alu instid0(VALU_DEP_3) | instskip(NEXT) | instid1(VALU_DEP_2)
	v_add_f64_e32 v[126:127], v[126:127], v[165:166]
	v_fma_f64 v[195:196], v[193:194], s[10:11], v[150:151]
	v_fma_f64 v[128:129], v[193:194], s[10:11], -v[150:151]
	v_mul_f64_e32 v[150:151], s[28:29], v[189:190]
	s_delay_alu instid0(VALU_DEP_3) | instskip(SKIP_1) | instid1(VALU_DEP_4)
	v_add_f64_e32 v[40:41], v[195:196], v[40:41]
	v_add_f64_e32 v[195:196], v[78:79], v[52:53]
	;; [unrolled: 1-line block ×3, first 2 shown]
	s_delay_alu instid0(VALU_DEP_2) | instskip(SKIP_1) | instid1(VALU_DEP_2)
	v_fma_f64 v[199:200], v[195:196], s[10:11], -v[197:198]
	v_fma_f64 v[128:129], v[195:196], s[10:11], v[197:198]
	v_add_f64_e32 v[42:43], v[199:200], v[42:43]
	v_add_f64_e32 v[199:200], v[82:83], v[76:77]
	s_delay_alu instid0(VALU_DEP_3) | instskip(SKIP_1) | instid1(VALU_DEP_3)
	v_add_f64_e32 v[126:127], v[128:129], v[126:127]
	v_mul_f64_e32 v[128:129], s[28:29], v[185:186]
	v_fma_f64 v[201:202], v[199:200], s[8:9], v[64:65]
	v_fma_f64 v[64:65], v[199:200], s[8:9], -v[64:65]
	s_delay_alu instid0(VALU_DEP_2) | instskip(SKIP_1) | instid1(VALU_DEP_3)
	v_add_f64_e32 v[40:41], v[201:202], v[40:41]
	v_add_f64_e32 v[201:202], v[86:87], v[80:81]
	;; [unrolled: 1-line block ×3, first 2 shown]
	s_delay_alu instid0(VALU_DEP_2) | instskip(SKIP_1) | instid1(VALU_DEP_2)
	v_fma_f64 v[206:207], v[201:202], s[8:9], -v[66:67]
	v_fma_f64 v[66:67], v[201:202], s[8:9], v[66:67]
	v_add_f64_e32 v[206:207], v[206:207], v[42:43]
	s_delay_alu instid0(VALU_DEP_2) | instskip(SKIP_3) | instid1(VALU_DEP_3)
	v_add_f64_e32 v[124:125], v[66:67], v[126:127]
	v_fma_f64 v[66:67], v[208:209], s[2:3], -v[210:211]
	v_fma_f64 v[126:127], v[212:213], s[2:3], v[214:215]
	v_fma_f64 v[42:43], v[208:209], s[2:3], v[210:211]
	v_add_f64_e32 v[66:67], v[66:67], v[64:65]
	s_delay_alu instid0(VALU_DEP_3)
	v_add_f64_e32 v[64:65], v[126:127], v[124:125]
	v_fma_f64 v[124:125], v[187:188], s[2:3], v[128:129]
	v_fma_f64 v[126:127], v[191:192], s[2:3], -v[150:151]
	v_fma_f64 v[128:129], v[187:188], s[2:3], -v[128:129]
	v_add_f64_e32 v[42:43], v[42:43], v[40:41]
	v_fma_f64 v[40:41], v[212:213], s[2:3], -v[214:215]
	v_add_f64_e32 v[124:125], v[124:125], v[152:153]
	v_mul_f64_e32 v[152:153], s[26:27], v[144:145]
	v_add_f64_e32 v[126:127], v[126:127], v[175:176]
	v_add_f64_e32 v[128:129], v[128:129], v[134:135]
	v_fma_f64 v[134:135], v[191:192], s[2:3], v[150:151]
	v_add_f64_e32 v[40:41], v[40:41], v[206:207]
	v_fma_f64 v[165:166], v[193:194], s[14:15], v[152:153]
	v_fma_f64 v[150:151], v[193:194], s[14:15], -v[152:153]
	v_mul_f64_e32 v[152:153], s[34:35], v[189:190]
	v_add_f64_e32 v[134:135], v[134:135], v[167:168]
	s_delay_alu instid0(VALU_DEP_4) | instskip(SKIP_2) | instid1(VALU_DEP_2)
	v_add_f64_e32 v[124:125], v[165:166], v[124:125]
	v_mul_f64_e32 v[165:166], s[26:27], v[146:147]
	v_add_f64_e32 v[128:129], v[150:151], v[128:129]
	v_fma_f64 v[175:176], v[195:196], s[14:15], -v[165:166]
	v_fma_f64 v[150:151], v[195:196], s[14:15], v[165:166]
	s_delay_alu instid0(VALU_DEP_2) | instskip(SKIP_1) | instid1(VALU_DEP_3)
	v_add_f64_e32 v[126:127], v[175:176], v[126:127]
	v_mul_f64_e32 v[175:176], s[22:23], v[58:59]
	v_add_f64_e32 v[134:135], v[150:151], v[134:135]
	s_delay_alu instid0(VALU_DEP_2) | instskip(SKIP_2) | instid1(VALU_DEP_3)
	v_fma_f64 v[197:198], v[199:200], s[12:13], v[175:176]
	v_fma_f64 v[150:151], v[199:200], s[12:13], -v[175:176]
	v_mul_f64_e32 v[175:176], s[18:19], v[74:75]
	v_add_f64_e32 v[124:125], v[197:198], v[124:125]
	v_mul_f64_e32 v[197:198], s[22:23], v[70:71]
	s_delay_alu instid0(VALU_DEP_4) | instskip(NEXT) | instid1(VALU_DEP_2)
	v_add_f64_e32 v[128:129], v[150:151], v[128:129]
	v_fma_f64 v[206:207], v[201:202], s[12:13], -v[197:198]
	v_fma_f64 v[150:151], v[201:202], s[12:13], v[197:198]
	s_delay_alu instid0(VALU_DEP_2) | instskip(SKIP_1) | instid1(VALU_DEP_3)
	v_add_f64_e32 v[206:207], v[206:207], v[126:127]
	v_fma_f64 v[126:127], v[208:209], s[8:9], v[130:131]
	v_add_f64_e32 v[134:135], v[150:151], v[134:135]
	v_fma_f64 v[130:131], v[208:209], s[8:9], -v[130:131]
	v_mul_f64_e32 v[150:151], s[34:35], v[185:186]
	s_delay_alu instid0(VALU_DEP_4) | instskip(SKIP_3) | instid1(VALU_DEP_3)
	v_add_f64_e32 v[126:127], v[126:127], v[124:125]
	v_fma_f64 v[124:125], v[212:213], s[8:9], -v[132:133]
	v_fma_f64 v[132:133], v[212:213], s[8:9], v[132:133]
	v_add_f64_e32 v[130:131], v[130:131], v[128:129]
	v_add_f64_e32 v[124:125], v[124:125], v[206:207]
	s_delay_alu instid0(VALU_DEP_3) | instskip(SKIP_3) | instid1(VALU_DEP_3)
	v_add_f64_e32 v[128:129], v[132:133], v[134:135]
	v_fma_f64 v[132:133], v[187:188], s[12:13], v[150:151]
	v_fma_f64 v[134:135], v[191:192], s[12:13], -v[152:153]
	v_fma_f64 v[150:151], v[187:188], s[12:13], -v[150:151]
	v_add_f64_e32 v[132:133], v[132:133], v[154:155]
	v_fma_f64 v[154:155], v[193:194], s[8:9], v[136:137]
	s_delay_alu instid0(VALU_DEP_4) | instskip(NEXT) | instid1(VALU_DEP_4)
	v_add_f64_e32 v[134:135], v[134:135], v[177:178]
	v_add_f64_e32 v[140:141], v[150:151], v[140:141]
	v_fma_f64 v[150:151], v[191:192], s[12:13], v[152:153]
	v_fma_f64 v[136:137], v[193:194], s[8:9], -v[136:137]
	v_mul_f64_e32 v[177:178], s[18:19], v[90:91]
	v_mul_f64_e32 v[152:153], s[24:25], v[185:186]
	v_add_f64_e32 v[132:133], v[154:155], v[132:133]
	v_fma_f64 v[154:155], v[195:196], s[8:9], -v[138:139]
	v_fma_f64 v[138:139], v[195:196], s[8:9], v[138:139]
	v_add_f64_e32 v[150:151], v[150:151], v[169:170]
	v_add_f64_e32 v[136:137], v[136:137], v[140:141]
	v_mul_f64_e32 v[169:170], s[18:19], v[58:59]
	v_add_f64_e32 v[134:135], v[154:155], v[134:135]
	v_mul_f64_e32 v[154:155], s[26:27], v[58:59]
	v_add_f64_e32 v[138:139], v[138:139], v[150:151]
	v_fma_f64 v[150:151], v[212:213], s[10:11], v[177:178]
	v_mul_f64_e32 v[58:59], s[28:29], v[58:59]
	s_delay_alu instid0(VALU_DEP_4) | instskip(SKIP_2) | instid1(VALU_DEP_3)
	v_fma_f64 v[165:166], v[199:200], s[14:15], v[154:155]
	v_fma_f64 v[140:141], v[199:200], s[14:15], -v[154:155]
	v_mul_f64_e32 v[154:155], s[24:25], v[189:190]
	v_add_f64_e32 v[132:133], v[165:166], v[132:133]
	v_mul_f64_e32 v[165:166], s[26:27], v[70:71]
	s_delay_alu instid0(VALU_DEP_4) | instskip(NEXT) | instid1(VALU_DEP_2)
	v_add_f64_e32 v[136:137], v[140:141], v[136:137]
	v_fma_f64 v[167:168], v[201:202], s[14:15], -v[165:166]
	v_fma_f64 v[140:141], v[201:202], s[14:15], v[165:166]
	v_mul_f64_e32 v[165:166], s[20:21], v[144:145]
	s_delay_alu instid0(VALU_DEP_3) | instskip(SKIP_1) | instid1(VALU_DEP_4)
	v_add_f64_e32 v[167:168], v[167:168], v[134:135]
	v_fma_f64 v[134:135], v[208:209], s[10:11], v[175:176]
	v_add_f64_e32 v[140:141], v[140:141], v[138:139]
	v_fma_f64 v[138:139], v[208:209], s[10:11], -v[175:176]
	v_mul_f64_e32 v[175:176], s[18:19], v[70:71]
	v_mul_f64_e32 v[70:71], s[28:29], v[70:71]
	v_add_f64_e32 v[134:135], v[134:135], v[132:133]
	v_fma_f64 v[132:133], v[212:213], s[10:11], -v[177:178]
	v_add_f64_e32 v[138:139], v[138:139], v[136:137]
	v_add_f64_e32 v[136:137], v[150:151], v[140:141]
	v_fma_f64 v[140:141], v[187:188], s[8:9], -v[152:153]
	v_fma_f64 v[150:151], v[193:194], s[2:3], -v[165:166]
	v_mul_f64_e32 v[177:178], s[22:23], v[74:75]
	v_mul_f64_e32 v[74:75], s[16:17], v[74:75]
	v_add_f64_e32 v[132:133], v[132:133], v[167:168]
	v_mul_f64_e32 v[167:168], s[20:21], v[146:147]
	v_add_f64_e32 v[140:141], v[140:141], v[142:143]
	v_fma_f64 v[142:143], v[191:192], s[8:9], v[154:155]
	s_delay_alu instid0(VALU_DEP_2) | instskip(NEXT) | instid1(VALU_DEP_2)
	v_add_f64_e32 v[140:141], v[150:151], v[140:141]
	v_add_f64_e32 v[142:143], v[142:143], v[179:180]
	v_fma_f64 v[150:151], v[195:196], s[2:3], v[167:168]
	v_mul_f64_e32 v[179:180], s[22:23], v[90:91]
	v_mul_f64_e32 v[90:91], s[16:17], v[90:91]
	s_delay_alu instid0(VALU_DEP_3) | instskip(SKIP_1) | instid1(VALU_DEP_1)
	v_add_f64_e32 v[142:143], v[150:151], v[142:143]
	v_fma_f64 v[150:151], v[199:200], s[10:11], -v[169:170]
	v_add_f64_e32 v[140:141], v[150:151], v[140:141]
	v_fma_f64 v[150:151], v[201:202], s[10:11], v[175:176]
	s_delay_alu instid0(VALU_DEP_1) | instskip(SKIP_1) | instid1(VALU_DEP_1)
	v_add_f64_e32 v[150:151], v[150:151], v[142:143]
	v_fma_f64 v[142:143], v[208:209], s[12:13], -v[177:178]
	v_add_f64_e32 v[142:143], v[142:143], v[140:141]
	v_fma_f64 v[140:141], v[212:213], s[12:13], v[179:180]
	s_delay_alu instid0(VALU_DEP_1) | instskip(SKIP_1) | instid1(VALU_DEP_1)
	v_add_f64_e32 v[140:141], v[140:141], v[150:151]
	v_mul_f64_e32 v[150:151], s[18:19], v[185:186]
	v_fma_f64 v[185:186], v[187:188], s[10:11], -v[150:151]
	v_fma_f64 v[150:151], v[187:188], s[10:11], v[150:151]
	s_delay_alu instid0(VALU_DEP_2) | instskip(SKIP_1) | instid1(VALU_DEP_3)
	v_add_f64_e32 v[163:164], v[185:186], v[163:164]
	v_mul_f64_e32 v[185:186], s[18:19], v[189:190]
	v_add_f64_e32 v[150:151], v[150:151], v[183:184]
	s_delay_alu instid0(VALU_DEP_2) | instskip(NEXT) | instid1(VALU_DEP_1)
	v_fma_f64 v[189:190], v[191:192], s[10:11], v[185:186]
	v_add_f64_e32 v[181:182], v[189:190], v[181:182]
	v_mul_f64_e32 v[189:190], s[34:35], v[144:145]
	s_delay_alu instid0(VALU_DEP_1) | instskip(NEXT) | instid1(VALU_DEP_1)
	v_fma_f64 v[144:145], v[193:194], s[12:13], -v[189:190]
	v_add_f64_e32 v[144:145], v[144:145], v[163:164]
	v_mul_f64_e32 v[163:164], s[34:35], v[146:147]
	s_delay_alu instid0(VALU_DEP_1) | instskip(SKIP_1) | instid1(VALU_DEP_2)
	v_fma_f64 v[146:147], v[195:196], s[12:13], v[163:164]
	v_fma_f64 v[163:164], v[195:196], s[12:13], -v[163:164]
	v_add_f64_e32 v[146:147], v[146:147], v[181:182]
	v_fma_f64 v[181:182], v[199:200], s[2:3], -v[58:59]
	v_fma_f64 v[58:59], v[199:200], s[2:3], v[58:59]
	s_delay_alu instid0(VALU_DEP_2) | instskip(SKIP_2) | instid1(VALU_DEP_2)
	v_add_f64_e32 v[144:145], v[181:182], v[144:145]
	v_fma_f64 v[181:182], v[201:202], s[2:3], v[70:71]
	v_fma_f64 v[70:71], v[201:202], s[2:3], -v[70:71]
	v_add_f64_e32 v[181:182], v[181:182], v[146:147]
	v_fma_f64 v[146:147], v[208:209], s[14:15], -v[74:75]
	v_fma_f64 v[74:75], v[208:209], s[14:15], v[74:75]
	s_delay_alu instid0(VALU_DEP_2) | instskip(SKIP_2) | instid1(VALU_DEP_2)
	v_add_f64_e32 v[146:147], v[146:147], v[144:145]
	v_fma_f64 v[144:145], v[212:213], s[14:15], v[90:91]
	v_fma_f64 v[90:91], v[212:213], s[14:15], -v[90:91]
	v_add_f64_e32 v[144:145], v[144:145], v[181:182]
	v_fma_f64 v[181:182], v[191:192], s[10:11], -v[185:186]
	s_delay_alu instid0(VALU_DEP_1) | instskip(SKIP_1) | instid1(VALU_DEP_2)
	v_add_f64_e32 v[148:149], v[181:182], v[148:149]
	v_fma_f64 v[181:182], v[193:194], s[12:13], v[189:190]
	v_add_f64_e32 v[148:149], v[163:164], v[148:149]
	s_delay_alu instid0(VALU_DEP_2) | instskip(NEXT) | instid1(VALU_DEP_2)
	v_add_f64_e32 v[150:151], v[181:182], v[150:151]
	v_add_f64_e32 v[70:71], v[70:71], v[148:149]
	s_delay_alu instid0(VALU_DEP_2) | instskip(NEXT) | instid1(VALU_DEP_2)
	v_add_f64_e32 v[58:59], v[58:59], v[150:151]
	v_add_f64_e32 v[148:149], v[90:91], v[70:71]
	s_delay_alu instid0(VALU_DEP_2) | instskip(SKIP_2) | instid1(VALU_DEP_2)
	v_add_f64_e32 v[150:151], v[74:75], v[58:59]
	v_add_f64_e32 v[58:59], v[157:158], v[62:63]
	;; [unrolled: 1-line block ×4, first 2 shown]
	s_delay_alu instid0(VALU_DEP_2) | instskip(NEXT) | instid1(VALU_DEP_2)
	v_add_f64_e32 v[62:63], v[62:63], v[78:79]
	v_add_f64_e32 v[58:59], v[58:59], v[82:83]
	s_delay_alu instid0(VALU_DEP_2) | instskip(NEXT) | instid1(VALU_DEP_2)
	v_add_f64_e32 v[62:63], v[62:63], v[86:87]
	v_add_f64_e32 v[58:59], v[58:59], v[88:89]
	;; [unrolled: 3-line block ×4, first 2 shown]
	s_delay_alu instid0(VALU_DEP_2) | instskip(SKIP_1) | instid1(VALU_DEP_3)
	v_add_f64_e32 v[44:45], v[44:45], v[80:81]
	v_fma_f64 v[58:59], v[201:202], s[10:11], -v[175:176]
	v_add_f64_e32 v[46:47], v[46:47], v[54:55]
	s_delay_alu instid0(VALU_DEP_3) | instskip(SKIP_2) | instid1(VALU_DEP_4)
	v_add_f64_e32 v[44:45], v[44:45], v[52:53]
	v_fma_f64 v[52:53], v[193:194], s[2:3], v[165:166]
	v_fma_f64 v[54:55], v[195:196], s[2:3], -v[167:168]
	v_add_f64_e32 v[46:47], v[46:47], v[60:61]
	s_delay_alu instid0(VALU_DEP_4) | instskip(SKIP_1) | instid1(VALU_DEP_3)
	v_add_f64_e32 v[44:45], v[44:45], v[48:49]
	v_fma_f64 v[48:49], v[187:188], s[8:9], v[152:153]
	v_add_f64_e32 v[46:47], v[46:47], v[56:57]
	s_delay_alu instid0(VALU_DEP_3) | instskip(SKIP_1) | instid1(VALU_DEP_4)
	v_add_f64_e32 v[44:45], v[44:45], v[50:51]
	v_fma_f64 v[50:51], v[191:192], s[8:9], -v[154:155]
	v_add_f64_e32 v[48:49], v[48:49], v[161:162]
	v_fma_f64 v[56:57], v[199:200], s[10:11], v[169:170]
	s_delay_alu instid0(VALU_DEP_3) | instskip(NEXT) | instid1(VALU_DEP_3)
	v_add_f64_e32 v[50:51], v[50:51], v[171:172]
	v_add_f64_e32 v[48:49], v[52:53], v[48:49]
	v_fma_f64 v[52:53], v[208:209], s[12:13], v[177:178]
	s_delay_alu instid0(VALU_DEP_3) | instskip(SKIP_1) | instid1(VALU_DEP_4)
	v_add_f64_e32 v[50:51], v[54:55], v[50:51]
	v_fma_f64 v[54:55], v[212:213], s[12:13], -v[179:180]
	v_add_f64_e32 v[48:49], v[56:57], v[48:49]
	s_delay_alu instid0(VALU_DEP_3) | instskip(NEXT) | instid1(VALU_DEP_2)
	v_add_f64_e32 v[56:57], v[58:59], v[50:51]
	v_add_f64_e32 v[50:51], v[52:53], v[48:49]
	v_mul_u32_u24_e32 v52, 0xb0, v226
	s_delay_alu instid0(VALU_DEP_1) | instskip(NEXT) | instid1(VALU_DEP_1)
	v_or_b32_e32 v52, v52, v255
	v_lshl_add_u32 v52, v52, 4, v205
	v_add_f64_e32 v[48:49], v[54:55], v[56:57]
	ds_store_b128 v52, v[128:131] offset:1024
	ds_store_b128 v52, v[64:67] offset:1280
	;; [unrolled: 1-line block ×9, first 2 shown]
	ds_store_b128 v52, v[44:47]
	ds_store_b128 v52, v[48:51] offset:2560
.LBB0_9:
	s_wait_alu 0xfffe
	s_or_b32 exec_lo, exec_lo, s30
	global_wb scope:SCOPE_SE
	s_wait_dscnt 0x0
	s_barrier_signal -1
	s_barrier_wait -1
	global_inv scope:SCOPE_SE
	ds_load_b128 v[40:43], v204 offset:2816
	ds_load_b128 v[44:47], v204 offset:5632
	;; [unrolled: 1-line block ×8, first 2 shown]
	s_mov_b32 s2, 0x134454ff
	s_mov_b32 s3, 0xbfee6f0e
	s_mov_b32 s9, 0x3fee6f0e
	s_wait_alu 0xfffe
	s_mov_b32 s8, s2
	s_wait_dscnt 0x7
	v_mul_f64_e32 v[78:79], v[94:95], v[40:41]
	s_wait_dscnt 0x6
	v_mul_f64_e32 v[74:75], v[98:99], v[46:47]
	;; [unrolled: 2-line block ×3, first 2 shown]
	v_mul_f64_e32 v[82:83], v[98:99], v[44:45]
	v_mul_f64_e32 v[84:85], v[106:107], v[48:49]
	;; [unrolled: 1-line block ×3, first 2 shown]
	s_wait_dscnt 0x4
	v_mul_f64_e32 v[80:81], v[102:103], v[54:55]
	v_mul_f64_e32 v[86:87], v[102:103], v[52:53]
	s_wait_dscnt 0x2
	v_mul_f64_e32 v[90:91], v[114:115], v[62:63]
	s_wait_dscnt 0x1
	v_mul_f64_e32 v[94:95], v[122:123], v[66:67]
	v_mul_f64_e32 v[98:99], v[114:115], v[60:61]
	;; [unrolled: 1-line block ×4, first 2 shown]
	s_wait_dscnt 0x0
	v_mul_f64_e32 v[102:103], v[118:119], v[70:71]
	v_mul_f64_e32 v[110:111], v[110:111], v[56:57]
	;; [unrolled: 1-line block ×3, first 2 shown]
	v_fma_f64 v[74:75], v[96:97], v[44:45], v[74:75]
	v_fma_f64 v[48:49], v[104:105], v[48:49], v[76:77]
	v_fma_f64 v[76:77], v[92:93], v[42:43], -v[78:79]
	v_fma_f64 v[78:79], v[96:97], v[46:47], -v[82:83]
	;; [unrolled: 1-line block ×3, first 2 shown]
	v_fma_f64 v[72:73], v[92:93], v[40:41], v[72:73]
	v_fma_f64 v[52:53], v[100:101], v[52:53], v[80:81]
	v_fma_f64 v[54:55], v[100:101], v[54:55], -v[86:87]
	v_fma_f64 v[60:61], v[112:113], v[60:61], v[90:91]
	v_fma_f64 v[64:65], v[120:121], v[64:65], v[94:95]
	v_fma_f64 v[62:63], v[112:113], v[62:63], -v[98:99]
	v_fma_f64 v[66:67], v[120:121], v[66:67], -v[106:107]
	v_fma_f64 v[56:57], v[108:109], v[56:57], v[88:89]
	v_fma_f64 v[68:69], v[116:117], v[68:69], v[102:103]
	v_fma_f64 v[58:59], v[108:109], v[58:59], -v[110:111]
	v_fma_f64 v[70:71], v[116:117], v[70:71], -v[114:115]
	ds_load_b128 v[40:43], v204
	ds_load_b128 v[44:47], v204 offset:1408
	v_add_f64_e32 v[80:81], v[74:75], v[48:49]
	s_wait_dscnt 0x1
	v_add_f64_e32 v[102:103], v[42:43], v[76:77]
	v_add_f64_e64 v[118:119], v[76:77], -v[78:79]
	v_add_f64_e32 v[84:85], v[78:79], v[50:51]
	v_add_f64_e32 v[96:97], v[40:41], v[72:73]
	;; [unrolled: 1-line block ×4, first 2 shown]
	v_add_f64_e64 v[98:99], v[76:77], -v[54:55]
	v_add_f64_e32 v[88:89], v[60:61], v[64:65]
	v_add_f64_e64 v[108:109], v[72:73], -v[52:53]
	v_add_f64_e32 v[92:93], v[62:63], v[66:67]
	s_wait_dscnt 0x0
	v_add_f64_e32 v[104:105], v[44:45], v[56:57]
	v_add_f64_e32 v[90:91], v[56:57], v[68:69]
	v_add_f64_e64 v[100:101], v[78:79], -v[50:51]
	v_add_f64_e32 v[94:95], v[58:59], v[70:71]
	v_add_f64_e32 v[106:107], v[46:47], v[58:59]
	v_add_f64_e64 v[110:111], v[58:59], -v[70:71]
	v_add_f64_e64 v[112:113], v[56:57], -v[68:69]
	;; [unrolled: 1-line block ×15, first 2 shown]
	v_fma_f64 v[80:81], v[80:81], -0.5, v[40:41]
	v_add_f64_e32 v[78:79], v[102:103], v[78:79]
	v_fma_f64 v[84:85], v[84:85], -0.5, v[42:43]
	v_fma_f64 v[40:41], v[82:83], -0.5, v[40:41]
	v_add_f64_e64 v[82:83], v[74:75], -v[48:49]
	v_fma_f64 v[42:43], v[86:87], -0.5, v[42:43]
	v_fma_f64 v[88:89], v[88:89], -0.5, v[44:45]
	v_add_f64_e64 v[86:87], v[62:63], -v[66:67]
	v_fma_f64 v[92:93], v[92:93], -0.5, v[46:47]
	v_fma_f64 v[44:45], v[90:91], -0.5, v[44:45]
	v_add_f64_e64 v[90:91], v[60:61], -v[64:65]
	v_fma_f64 v[46:47], v[94:95], -0.5, v[46:47]
	v_add_f64_e64 v[94:95], v[72:73], -v[74:75]
	v_add_f64_e64 v[72:73], v[74:75], -v[72:73]
	v_add_f64_e32 v[74:75], v[96:97], v[74:75]
	v_add_f64_e32 v[60:61], v[104:105], v[60:61]
	;; [unrolled: 1-line block ×5, first 2 shown]
	v_fma_f64 v[96:97], v[98:99], s[2:3], v[80:81]
	s_wait_alu 0xfffe
	v_fma_f64 v[80:81], v[98:99], s[8:9], v[80:81]
	v_add_f64_e32 v[50:51], v[78:79], v[50:51]
	v_fma_f64 v[104:105], v[108:109], s[8:9], v[84:85]
	v_fma_f64 v[84:85], v[108:109], s[2:3], v[84:85]
	v_fma_f64 v[102:103], v[100:101], s[8:9], v[40:41]
	v_fma_f64 v[40:41], v[100:101], s[2:3], v[40:41]
	v_fma_f64 v[106:107], v[82:83], s[2:3], v[42:43]
	v_fma_f64 v[42:43], v[82:83], s[8:9], v[42:43]
	v_fma_f64 v[136:137], v[110:111], s[2:3], v[88:89]
	v_fma_f64 v[140:141], v[112:113], s[8:9], v[92:93]
	v_fma_f64 v[88:89], v[110:111], s[8:9], v[88:89]
	v_fma_f64 v[138:139], v[86:87], s[8:9], v[44:45]
	v_fma_f64 v[44:45], v[86:87], s[2:3], v[44:45]
	v_fma_f64 v[142:143], v[90:91], s[2:3], v[46:47]
	v_fma_f64 v[46:47], v[90:91], s[8:9], v[46:47]
	v_fma_f64 v[92:93], v[112:113], s[2:3], v[92:93]
	s_mov_b32 s2, 0x4755a5e
	s_mov_b32 s3, 0xbfe2cf23
	;; [unrolled: 1-line block ×3, first 2 shown]
	s_wait_alu 0xfffe
	s_mov_b32 s8, s2
	v_add_f64_e32 v[48:49], v[74:75], v[48:49]
	v_add_f64_e32 v[94:95], v[94:95], v[114:115]
	;; [unrolled: 1-line block ×9, first 2 shown]
	v_fma_f64 v[60:61], v[100:101], s[2:3], v[96:97]
	s_wait_alu 0xfffe
	v_fma_f64 v[62:63], v[100:101], s[8:9], v[80:81]
	v_fma_f64 v[74:75], v[82:83], s[8:9], v[104:105]
	;; [unrolled: 1-line block ×15, first 2 shown]
	s_mov_b32 s2, 0x372fe950
	s_mov_b32 s3, 0x3fd3c6ef
	v_add_f64_e32 v[42:43], v[50:51], v[54:55]
	v_add_f64_e32 v[40:41], v[48:49], v[52:53]
	;; [unrolled: 1-line block ×4, first 2 shown]
	s_wait_alu 0xfffe
	v_fma_f64 v[48:49], v[94:95], s[2:3], v[60:61]
	v_fma_f64 v[52:53], v[94:95], s[2:3], v[62:63]
	;; [unrolled: 1-line block ×16, first 2 shown]
	v_mad_co_u64_u32 v[80:81], null, s6, v6, 0
	v_mad_co_u64_u32 v[82:83], null, s4, v16, 0
	s_mul_u64 s[2:3], s[4:5], 0x1b80
	ds_store_b128 v204, v[40:43]
	ds_store_b128 v204, v[48:51] offset:2816
	ds_store_b128 v204, v[56:59] offset:5632
	;; [unrolled: 1-line block ×9, first 2 shown]
	global_wb scope:SCOPE_SE
	s_wait_dscnt 0x0
	s_barrier_signal -1
	s_barrier_wait -1
	global_inv scope:SCOPE_SE
	ds_load_b128 v[40:43], v204
	ds_load_b128 v[44:47], v204 offset:7040
	ds_load_b128 v[48:51], v204 offset:1408
	;; [unrolled: 1-line block ×9, first 2 shown]
	s_clause 0x3
	scratch_load_b128 v[24:27], off, off th:TH_LOAD_LU
	scratch_load_b128 v[28:31], off, off offset:16 th:TH_LOAD_LU
	scratch_load_b128 v[32:35], off, off offset:32 th:TH_LOAD_LU
	;; [unrolled: 1-line block ×3, first 2 shown]
	v_mad_co_u64_u32 v[84:85], null, s7, v6, v[81:82]
	s_delay_alu instid0(VALU_DEP_1)
	v_mad_co_u64_u32 v[105:106], null, s5, v16, v[83:84]
	s_wait_dscnt 0x5
	v_mul_f64_e32 v[93:94], v[251:252], v[58:59]
	v_mul_f64_e32 v[22:23], v[251:252], v[56:57]
	;; [unrolled: 1-line block ×10, first 2 shown]
	s_wait_dscnt 0x4
	v_mul_f64_e32 v[95:96], v[247:248], v[62:63]
	v_mul_f64_e32 v[18:19], v[247:248], v[60:61]
	v_mov_b32_e32 v81, v84
	v_mov_b32_e32 v83, v105
	s_delay_alu instid0(VALU_DEP_2) | instskip(NEXT) | instid1(VALU_DEP_2)
	v_lshlrev_b64_e32 v[80:81], 4, v[80:81]
	v_lshlrev_b64_e32 v[82:83], 4, v[82:83]
	s_delay_alu instid0(VALU_DEP_2) | instskip(SKIP_1) | instid1(VALU_DEP_3)
	v_add_co_u32 v80, vcc_lo, s0, v80
	s_wait_alu 0xfffd
	v_add_co_ci_u32_e32 v81, vcc_lo, s1, v81, vcc_lo
	s_movk_i32 s0, 0xea00
	s_mov_b32 s1, -1
	s_wait_alu 0xfffe
	s_mul_u64 s[0:1], s[4:5], s[0:1]
	s_mov_b32 s4, 0x29e4129e
	s_mov_b32 s5, 0x3f529e41
	v_fma_f64 v[20:21], v[249:250], v[58:59], -v[22:23]
	v_fma_f64 v[40:41], v[222:223], v[40:41], v[85:86]
	v_fma_f64 v[4:5], v[222:223], v[42:43], -v[6:7]
	v_fma_f64 v[6:7], v[218:219], v[44:45], v[87:88]
	;; [unrolled: 2-line block ×5, first 2 shown]
	v_fma_f64 v[22:23], v[245:246], v[60:61], v[95:96]
	v_fma_f64 v[50:51], v[245:246], v[62:63], -v[18:19]
	v_add_co_u32 v60, vcc_lo, v80, v82
	s_wait_alu 0xfffd
	v_add_co_ci_u32_e32 v61, vcc_lo, v81, v83, vcc_lo
	s_delay_alu instid0(VALU_DEP_2) | instskip(SKIP_1) | instid1(VALU_DEP_2)
	v_add_co_u32 v62, vcc_lo, v60, s2
	s_wait_alu 0xfffd
	v_add_co_ci_u32_e32 v63, vcc_lo, s3, v61, vcc_lo
	s_wait_alu 0xfffe
	v_mul_f64_e32 v[18:19], s[4:5], v[20:21]
	v_mul_f64_e32 v[0:1], s[4:5], v[40:41]
	;; [unrolled: 1-line block ×12, first 2 shown]
	s_wait_loadcnt_dscnt 0x303
	v_mul_f64_e32 v[97:98], v[26:27], v[66:67]
	v_mul_f64_e32 v[26:27], v[26:27], v[64:65]
	s_wait_loadcnt_dscnt 0x202
	v_mul_f64_e32 v[99:100], v[30:31], v[70:71]
	v_mul_f64_e32 v[30:31], v[30:31], v[68:69]
	;; [unrolled: 3-line block ×4, first 2 shown]
	v_fma_f64 v[52:53], v[24:25], v[64:65], v[97:98]
	v_fma_f64 v[26:27], v[24:25], v[66:67], -v[26:27]
	v_fma_f64 v[54:55], v[28:29], v[68:69], v[99:100]
	v_fma_f64 v[30:31], v[28:29], v[70:71], -v[30:31]
	;; [unrolled: 2-line block ×4, first 2 shown]
	v_add_co_u32 v64, vcc_lo, v62, s0
	s_wait_alu 0xfffd
	v_add_co_ci_u32_e32 v65, vcc_lo, s1, v63, vcc_lo
	s_delay_alu instid0(VALU_DEP_2) | instskip(SKIP_1) | instid1(VALU_DEP_2)
	v_add_co_u32 v66, vcc_lo, v64, s2
	s_wait_alu 0xfffd
	v_add_co_ci_u32_e32 v67, vcc_lo, s3, v65, vcc_lo
	s_delay_alu instid0(VALU_DEP_2) | instskip(SKIP_1) | instid1(VALU_DEP_2)
	;; [unrolled: 4-line block ×5, first 2 shown]
	v_add_co_u32 v46, vcc_lo, v44, s2
	s_wait_alu 0xfffd
	v_add_co_ci_u32_e32 v47, vcc_lo, s3, v45, vcc_lo
	v_mul_f64_e32 v[24:25], s[4:5], v[52:53]
	v_mul_f64_e32 v[26:27], s[4:5], v[26:27]
	;; [unrolled: 1-line block ×8, first 2 shown]
	v_add_co_u32 v48, vcc_lo, v46, s0
	s_wait_alu 0xfffd
	v_add_co_ci_u32_e32 v49, vcc_lo, s1, v47, vcc_lo
	s_delay_alu instid0(VALU_DEP_2) | instskip(SKIP_1) | instid1(VALU_DEP_2)
	v_add_co_u32 v50, vcc_lo, v48, s2
	s_wait_alu 0xfffd
	v_add_co_ci_u32_e32 v51, vcc_lo, s3, v49, vcc_lo
	s_clause 0x4
	global_store_b128 v[60:61], v[0:3], off
	global_store_b128 v[62:63], v[4:7], off
	;; [unrolled: 1-line block ×10, first 2 shown]
.LBB0_10:
	s_nop 0
	s_sendmsg sendmsg(MSG_DEALLOC_VGPRS)
	s_endpgm
	.section	.rodata,"a",@progbits
	.p2align	6, 0x0
	.amdhsa_kernel bluestein_single_fwd_len880_dim1_dp_op_CI_CI
		.amdhsa_group_segment_fixed_size 28160
		.amdhsa_private_segment_fixed_size 84
		.amdhsa_kernarg_size 104
		.amdhsa_user_sgpr_count 2
		.amdhsa_user_sgpr_dispatch_ptr 0
		.amdhsa_user_sgpr_queue_ptr 0
		.amdhsa_user_sgpr_kernarg_segment_ptr 1
		.amdhsa_user_sgpr_dispatch_id 0
		.amdhsa_user_sgpr_private_segment_size 0
		.amdhsa_wavefront_size32 1
		.amdhsa_uses_dynamic_stack 0
		.amdhsa_enable_private_segment 1
		.amdhsa_system_sgpr_workgroup_id_x 1
		.amdhsa_system_sgpr_workgroup_id_y 0
		.amdhsa_system_sgpr_workgroup_id_z 0
		.amdhsa_system_sgpr_workgroup_info 0
		.amdhsa_system_vgpr_workitem_id 0
		.amdhsa_next_free_vgpr 256
		.amdhsa_next_free_sgpr 42
		.amdhsa_reserve_vcc 1
		.amdhsa_float_round_mode_32 0
		.amdhsa_float_round_mode_16_64 0
		.amdhsa_float_denorm_mode_32 3
		.amdhsa_float_denorm_mode_16_64 3
		.amdhsa_fp16_overflow 0
		.amdhsa_workgroup_processor_mode 1
		.amdhsa_memory_ordered 1
		.amdhsa_forward_progress 0
		.amdhsa_round_robin_scheduling 0
		.amdhsa_exception_fp_ieee_invalid_op 0
		.amdhsa_exception_fp_denorm_src 0
		.amdhsa_exception_fp_ieee_div_zero 0
		.amdhsa_exception_fp_ieee_overflow 0
		.amdhsa_exception_fp_ieee_underflow 0
		.amdhsa_exception_fp_ieee_inexact 0
		.amdhsa_exception_int_div_zero 0
	.end_amdhsa_kernel
	.text
.Lfunc_end0:
	.size	bluestein_single_fwd_len880_dim1_dp_op_CI_CI, .Lfunc_end0-bluestein_single_fwd_len880_dim1_dp_op_CI_CI
                                        ; -- End function
	.section	.AMDGPU.csdata,"",@progbits
; Kernel info:
; codeLenInByte = 15664
; NumSgprs: 44
; NumVgprs: 256
; ScratchSize: 84
; MemoryBound: 0
; FloatMode: 240
; IeeeMode: 1
; LDSByteSize: 28160 bytes/workgroup (compile time only)
; SGPRBlocks: 5
; VGPRBlocks: 31
; NumSGPRsForWavesPerEU: 44
; NumVGPRsForWavesPerEU: 256
; Occupancy: 5
; WaveLimiterHint : 1
; COMPUTE_PGM_RSRC2:SCRATCH_EN: 1
; COMPUTE_PGM_RSRC2:USER_SGPR: 2
; COMPUTE_PGM_RSRC2:TRAP_HANDLER: 0
; COMPUTE_PGM_RSRC2:TGID_X_EN: 1
; COMPUTE_PGM_RSRC2:TGID_Y_EN: 0
; COMPUTE_PGM_RSRC2:TGID_Z_EN: 0
; COMPUTE_PGM_RSRC2:TIDIG_COMP_CNT: 0
	.text
	.p2alignl 7, 3214868480
	.fill 96, 4, 3214868480
	.type	__hip_cuid_9cb3bd6edc63f96c,@object ; @__hip_cuid_9cb3bd6edc63f96c
	.section	.bss,"aw",@nobits
	.globl	__hip_cuid_9cb3bd6edc63f96c
__hip_cuid_9cb3bd6edc63f96c:
	.byte	0                               ; 0x0
	.size	__hip_cuid_9cb3bd6edc63f96c, 1

	.ident	"AMD clang version 19.0.0git (https://github.com/RadeonOpenCompute/llvm-project roc-6.4.0 25133 c7fe45cf4b819c5991fe208aaa96edf142730f1d)"
	.section	".note.GNU-stack","",@progbits
	.addrsig
	.addrsig_sym __hip_cuid_9cb3bd6edc63f96c
	.amdgpu_metadata
---
amdhsa.kernels:
  - .args:
      - .actual_access:  read_only
        .address_space:  global
        .offset:         0
        .size:           8
        .value_kind:     global_buffer
      - .actual_access:  read_only
        .address_space:  global
        .offset:         8
        .size:           8
        .value_kind:     global_buffer
      - .actual_access:  read_only
        .address_space:  global
        .offset:         16
        .size:           8
        .value_kind:     global_buffer
      - .actual_access:  read_only
        .address_space:  global
        .offset:         24
        .size:           8
        .value_kind:     global_buffer
      - .actual_access:  read_only
        .address_space:  global
        .offset:         32
        .size:           8
        .value_kind:     global_buffer
      - .offset:         40
        .size:           8
        .value_kind:     by_value
      - .address_space:  global
        .offset:         48
        .size:           8
        .value_kind:     global_buffer
      - .address_space:  global
        .offset:         56
        .size:           8
        .value_kind:     global_buffer
      - .address_space:  global
        .offset:         64
        .size:           8
        .value_kind:     global_buffer
      - .address_space:  global
        .offset:         72
        .size:           8
        .value_kind:     global_buffer
      - .offset:         80
        .size:           4
        .value_kind:     by_value
      - .address_space:  global
        .offset:         88
        .size:           8
        .value_kind:     global_buffer
      - .address_space:  global
        .offset:         96
        .size:           8
        .value_kind:     global_buffer
    .group_segment_fixed_size: 28160
    .kernarg_segment_align: 8
    .kernarg_segment_size: 104
    .language:       OpenCL C
    .language_version:
      - 2
      - 0
    .max_flat_workgroup_size: 176
    .name:           bluestein_single_fwd_len880_dim1_dp_op_CI_CI
    .private_segment_fixed_size: 84
    .sgpr_count:     44
    .sgpr_spill_count: 0
    .symbol:         bluestein_single_fwd_len880_dim1_dp_op_CI_CI.kd
    .uniform_work_group_size: 1
    .uses_dynamic_stack: false
    .vgpr_count:     256
    .vgpr_spill_count: 20
    .wavefront_size: 32
    .workgroup_processor_mode: 1
amdhsa.target:   amdgcn-amd-amdhsa--gfx1201
amdhsa.version:
  - 1
  - 2
...

	.end_amdgpu_metadata
